;; amdgpu-corpus repo=ROCm/hipCUB kind=compiled arch=gfx1201 opt=O3
	.amdgcn_target "amdgcn-amd-amdhsa--gfx1201"
	.amdhsa_code_object_version 6
	.section	.text._Z16warp_load_kernelILj256ELj4ELj32ELN6hipcub17WarpLoadAlgorithmE0EiEvPT3_S3_,"axG",@progbits,_Z16warp_load_kernelILj256ELj4ELj32ELN6hipcub17WarpLoadAlgorithmE0EiEvPT3_S3_,comdat
	.protected	_Z16warp_load_kernelILj256ELj4ELj32ELN6hipcub17WarpLoadAlgorithmE0EiEvPT3_S3_ ; -- Begin function _Z16warp_load_kernelILj256ELj4ELj32ELN6hipcub17WarpLoadAlgorithmE0EiEvPT3_S3_
	.globl	_Z16warp_load_kernelILj256ELj4ELj32ELN6hipcub17WarpLoadAlgorithmE0EiEvPT3_S3_
	.p2align	8
	.type	_Z16warp_load_kernelILj256ELj4ELj32ELN6hipcub17WarpLoadAlgorithmE0EiEvPT3_S3_,@function
_Z16warp_load_kernelILj256ELj4ELj32ELN6hipcub17WarpLoadAlgorithmE0EiEvPT3_S3_: ; @_Z16warp_load_kernelILj256ELj4ELj32ELN6hipcub17WarpLoadAlgorithmE0EiEvPT3_S3_
; %bb.0:
	s_load_b128 s[0:3], s[0:1], 0x0
	v_dual_mov_b32 v6, 0 :: v_dual_lshlrev_b32 v1, 2, v0
	s_lshl_b32 s4, ttmp9, 10
	v_mbcnt_lo_u32_b32 v3, -1, 0
	s_delay_alu instid0(VALU_DEP_2) | instskip(NEXT) | instid1(VALU_DEP_3)
	v_and_or_b32 v5, 0x380, v1, s4
	v_mov_b32_e32 v8, v6
	s_delay_alu instid0(VALU_DEP_3) | instskip(NEXT) | instid1(VALU_DEP_3)
	v_dual_mov_b32 v10, v6 :: v_dual_lshlrev_b32 v3, 4, v3
	v_lshlrev_b64_e32 v[1:2], 2, v[5:6]
	v_or_b32_e32 v5, s4, v0
	s_delay_alu instid0(VALU_DEP_1) | instskip(SKIP_4) | instid1(VALU_DEP_1)
	v_or_b32_e32 v7, 0x100, v5
	v_or_b32_e32 v9, 0x200, v5
	v_lshlrev_b64_e32 v[11:12], 2, v[5:6]
	s_wait_kmcnt 0x0
	v_add_co_u32 v1, vcc_lo, s0, v1
	v_add_co_ci_u32_e64 v2, null, s1, v2, vcc_lo
	v_or_b32_e32 v5, 0x300, v5
	s_delay_alu instid0(VALU_DEP_3) | instskip(SKIP_1) | instid1(VALU_DEP_3)
	v_add_co_u32 v1, vcc_lo, v1, v3
	s_wait_alu 0xfffd
	v_add_co_ci_u32_e64 v2, null, 0, v2, vcc_lo
	v_lshlrev_b64_e32 v[7:8], 2, v[7:8]
	v_lshlrev_b64_e32 v[9:10], 2, v[9:10]
	v_lshlrev_b64_e32 v[5:6], 2, v[5:6]
	global_load_b128 v[1:4], v[1:2], off
	v_add_co_u32 v11, vcc_lo, s2, v11
	s_wait_alu 0xfffd
	v_add_co_ci_u32_e64 v12, null, s3, v12, vcc_lo
	v_add_co_u32 v7, vcc_lo, s2, v7
	s_wait_alu 0xfffd
	v_add_co_ci_u32_e64 v8, null, s3, v8, vcc_lo
	v_add_co_u32 v9, vcc_lo, s2, v9
	s_wait_alu 0xfffd
	v_add_co_ci_u32_e64 v10, null, s3, v10, vcc_lo
	v_add_co_u32 v5, vcc_lo, s2, v5
	s_wait_alu 0xfffd
	v_add_co_ci_u32_e64 v6, null, s3, v6, vcc_lo
	s_wait_loadcnt 0x0
	s_clause 0x3
	global_store_b32 v[11:12], v1, off
	global_store_b32 v[7:8], v2, off
	;; [unrolled: 1-line block ×4, first 2 shown]
	s_endpgm
	.section	.rodata,"a",@progbits
	.p2align	6, 0x0
	.amdhsa_kernel _Z16warp_load_kernelILj256ELj4ELj32ELN6hipcub17WarpLoadAlgorithmE0EiEvPT3_S3_
		.amdhsa_group_segment_fixed_size 0
		.amdhsa_private_segment_fixed_size 0
		.amdhsa_kernarg_size 16
		.amdhsa_user_sgpr_count 2
		.amdhsa_user_sgpr_dispatch_ptr 0
		.amdhsa_user_sgpr_queue_ptr 0
		.amdhsa_user_sgpr_kernarg_segment_ptr 1
		.amdhsa_user_sgpr_dispatch_id 0
		.amdhsa_user_sgpr_private_segment_size 0
		.amdhsa_wavefront_size32 1
		.amdhsa_uses_dynamic_stack 0
		.amdhsa_enable_private_segment 0
		.amdhsa_system_sgpr_workgroup_id_x 1
		.amdhsa_system_sgpr_workgroup_id_y 0
		.amdhsa_system_sgpr_workgroup_id_z 0
		.amdhsa_system_sgpr_workgroup_info 0
		.amdhsa_system_vgpr_workitem_id 0
		.amdhsa_next_free_vgpr 13
		.amdhsa_next_free_sgpr 5
		.amdhsa_reserve_vcc 1
		.amdhsa_float_round_mode_32 0
		.amdhsa_float_round_mode_16_64 0
		.amdhsa_float_denorm_mode_32 3
		.amdhsa_float_denorm_mode_16_64 3
		.amdhsa_fp16_overflow 0
		.amdhsa_workgroup_processor_mode 1
		.amdhsa_memory_ordered 1
		.amdhsa_forward_progress 1
		.amdhsa_inst_pref_size 3
		.amdhsa_round_robin_scheduling 0
		.amdhsa_exception_fp_ieee_invalid_op 0
		.amdhsa_exception_fp_denorm_src 0
		.amdhsa_exception_fp_ieee_div_zero 0
		.amdhsa_exception_fp_ieee_overflow 0
		.amdhsa_exception_fp_ieee_underflow 0
		.amdhsa_exception_fp_ieee_inexact 0
		.amdhsa_exception_int_div_zero 0
	.end_amdhsa_kernel
	.section	.text._Z16warp_load_kernelILj256ELj4ELj32ELN6hipcub17WarpLoadAlgorithmE0EiEvPT3_S3_,"axG",@progbits,_Z16warp_load_kernelILj256ELj4ELj32ELN6hipcub17WarpLoadAlgorithmE0EiEvPT3_S3_,comdat
.Lfunc_end0:
	.size	_Z16warp_load_kernelILj256ELj4ELj32ELN6hipcub17WarpLoadAlgorithmE0EiEvPT3_S3_, .Lfunc_end0-_Z16warp_load_kernelILj256ELj4ELj32ELN6hipcub17WarpLoadAlgorithmE0EiEvPT3_S3_
                                        ; -- End function
	.set _Z16warp_load_kernelILj256ELj4ELj32ELN6hipcub17WarpLoadAlgorithmE0EiEvPT3_S3_.num_vgpr, 13
	.set _Z16warp_load_kernelILj256ELj4ELj32ELN6hipcub17WarpLoadAlgorithmE0EiEvPT3_S3_.num_agpr, 0
	.set _Z16warp_load_kernelILj256ELj4ELj32ELN6hipcub17WarpLoadAlgorithmE0EiEvPT3_S3_.numbered_sgpr, 5
	.set _Z16warp_load_kernelILj256ELj4ELj32ELN6hipcub17WarpLoadAlgorithmE0EiEvPT3_S3_.num_named_barrier, 0
	.set _Z16warp_load_kernelILj256ELj4ELj32ELN6hipcub17WarpLoadAlgorithmE0EiEvPT3_S3_.private_seg_size, 0
	.set _Z16warp_load_kernelILj256ELj4ELj32ELN6hipcub17WarpLoadAlgorithmE0EiEvPT3_S3_.uses_vcc, 1
	.set _Z16warp_load_kernelILj256ELj4ELj32ELN6hipcub17WarpLoadAlgorithmE0EiEvPT3_S3_.uses_flat_scratch, 0
	.set _Z16warp_load_kernelILj256ELj4ELj32ELN6hipcub17WarpLoadAlgorithmE0EiEvPT3_S3_.has_dyn_sized_stack, 0
	.set _Z16warp_load_kernelILj256ELj4ELj32ELN6hipcub17WarpLoadAlgorithmE0EiEvPT3_S3_.has_recursion, 0
	.set _Z16warp_load_kernelILj256ELj4ELj32ELN6hipcub17WarpLoadAlgorithmE0EiEvPT3_S3_.has_indirect_call, 0
	.section	.AMDGPU.csdata,"",@progbits
; Kernel info:
; codeLenInByte = 308
; TotalNumSgprs: 7
; NumVgprs: 13
; ScratchSize: 0
; MemoryBound: 0
; FloatMode: 240
; IeeeMode: 1
; LDSByteSize: 0 bytes/workgroup (compile time only)
; SGPRBlocks: 0
; VGPRBlocks: 1
; NumSGPRsForWavesPerEU: 7
; NumVGPRsForWavesPerEU: 13
; Occupancy: 16
; WaveLimiterHint : 0
; COMPUTE_PGM_RSRC2:SCRATCH_EN: 0
; COMPUTE_PGM_RSRC2:USER_SGPR: 2
; COMPUTE_PGM_RSRC2:TRAP_HANDLER: 0
; COMPUTE_PGM_RSRC2:TGID_X_EN: 1
; COMPUTE_PGM_RSRC2:TGID_Y_EN: 0
; COMPUTE_PGM_RSRC2:TGID_Z_EN: 0
; COMPUTE_PGM_RSRC2:TIDIG_COMP_CNT: 0
	.section	.text._Z16warp_load_kernelILj256ELj4ELj32ELN6hipcub17WarpLoadAlgorithmE1EiEvPT3_S3_,"axG",@progbits,_Z16warp_load_kernelILj256ELj4ELj32ELN6hipcub17WarpLoadAlgorithmE1EiEvPT3_S3_,comdat
	.protected	_Z16warp_load_kernelILj256ELj4ELj32ELN6hipcub17WarpLoadAlgorithmE1EiEvPT3_S3_ ; -- Begin function _Z16warp_load_kernelILj256ELj4ELj32ELN6hipcub17WarpLoadAlgorithmE1EiEvPT3_S3_
	.globl	_Z16warp_load_kernelILj256ELj4ELj32ELN6hipcub17WarpLoadAlgorithmE1EiEvPT3_S3_
	.p2align	8
	.type	_Z16warp_load_kernelILj256ELj4ELj32ELN6hipcub17WarpLoadAlgorithmE1EiEvPT3_S3_,@function
_Z16warp_load_kernelILj256ELj4ELj32ELN6hipcub17WarpLoadAlgorithmE1EiEvPT3_S3_: ; @_Z16warp_load_kernelILj256ELj4ELj32ELN6hipcub17WarpLoadAlgorithmE1EiEvPT3_S3_
; %bb.0:
	s_load_b128 s[0:3], s[0:1], 0x0
	v_dual_mov_b32 v2, 0 :: v_dual_lshlrev_b32 v1, 2, v0
	s_lshl_b32 s4, ttmp9, 10
	v_mbcnt_lo_u32_b32 v5, -1, 0
	s_delay_alu instid0(VALU_DEP_2) | instskip(NEXT) | instid1(VALU_DEP_3)
	v_and_or_b32 v1, 0x380, v1, s4
	v_mov_b32_e32 v6, v2
	s_delay_alu instid0(VALU_DEP_2) | instskip(NEXT) | instid1(VALU_DEP_4)
	v_lshlrev_b64_e32 v[3:4], 2, v[1:2]
	v_lshlrev_b32_e32 v1, 2, v5
	s_wait_kmcnt 0x0
	s_delay_alu instid0(VALU_DEP_2) | instskip(NEXT) | instid1(VALU_DEP_1)
	v_add_co_u32 v3, vcc_lo, s0, v3
	v_add_co_ci_u32_e64 v4, null, s1, v4, vcc_lo
	s_delay_alu instid0(VALU_DEP_2) | instskip(SKIP_1) | instid1(VALU_DEP_2)
	v_add_co_u32 v3, vcc_lo, v3, v1
	s_wait_alu 0xfffd
	v_add_co_ci_u32_e64 v4, null, 0, v4, vcc_lo
	v_or_b32_e32 v1, s4, v0
	s_clause 0x3
	global_load_b32 v9, v[3:4], off
	global_load_b32 v10, v[3:4], off offset:128
	global_load_b32 v11, v[3:4], off offset:256
	;; [unrolled: 1-line block ×3, first 2 shown]
	v_mov_b32_e32 v4, v2
	v_or_b32_e32 v3, 0x100, v1
	v_or_b32_e32 v5, 0x200, v1
	v_lshlrev_b64_e32 v[7:8], 2, v[1:2]
	v_or_b32_e32 v1, 0x300, v1
	s_delay_alu instid0(VALU_DEP_4) | instskip(NEXT) | instid1(VALU_DEP_4)
	v_lshlrev_b64_e32 v[3:4], 2, v[3:4]
	v_lshlrev_b64_e32 v[5:6], 2, v[5:6]
	s_delay_alu instid0(VALU_DEP_3)
	v_lshlrev_b64_e32 v[0:1], 2, v[1:2]
	v_add_co_u32 v7, vcc_lo, s2, v7
	s_wait_alu 0xfffd
	v_add_co_ci_u32_e64 v8, null, s3, v8, vcc_lo
	v_add_co_u32 v2, vcc_lo, s2, v3
	s_wait_alu 0xfffd
	v_add_co_ci_u32_e64 v3, null, s3, v4, vcc_lo
	;; [unrolled: 3-line block ×4, first 2 shown]
	s_wait_loadcnt 0x3
	global_store_b32 v[7:8], v9, off
	s_wait_loadcnt 0x2
	global_store_b32 v[2:3], v10, off
	;; [unrolled: 2-line block ×4, first 2 shown]
	s_endpgm
	.section	.rodata,"a",@progbits
	.p2align	6, 0x0
	.amdhsa_kernel _Z16warp_load_kernelILj256ELj4ELj32ELN6hipcub17WarpLoadAlgorithmE1EiEvPT3_S3_
		.amdhsa_group_segment_fixed_size 0
		.amdhsa_private_segment_fixed_size 0
		.amdhsa_kernarg_size 16
		.amdhsa_user_sgpr_count 2
		.amdhsa_user_sgpr_dispatch_ptr 0
		.amdhsa_user_sgpr_queue_ptr 0
		.amdhsa_user_sgpr_kernarg_segment_ptr 1
		.amdhsa_user_sgpr_dispatch_id 0
		.amdhsa_user_sgpr_private_segment_size 0
		.amdhsa_wavefront_size32 1
		.amdhsa_uses_dynamic_stack 0
		.amdhsa_enable_private_segment 0
		.amdhsa_system_sgpr_workgroup_id_x 1
		.amdhsa_system_sgpr_workgroup_id_y 0
		.amdhsa_system_sgpr_workgroup_id_z 0
		.amdhsa_system_sgpr_workgroup_info 0
		.amdhsa_system_vgpr_workitem_id 0
		.amdhsa_next_free_vgpr 13
		.amdhsa_next_free_sgpr 5
		.amdhsa_reserve_vcc 1
		.amdhsa_float_round_mode_32 0
		.amdhsa_float_round_mode_16_64 0
		.amdhsa_float_denorm_mode_32 3
		.amdhsa_float_denorm_mode_16_64 3
		.amdhsa_fp16_overflow 0
		.amdhsa_workgroup_processor_mode 1
		.amdhsa_memory_ordered 1
		.amdhsa_forward_progress 1
		.amdhsa_inst_pref_size 3
		.amdhsa_round_robin_scheduling 0
		.amdhsa_exception_fp_ieee_invalid_op 0
		.amdhsa_exception_fp_denorm_src 0
		.amdhsa_exception_fp_ieee_div_zero 0
		.amdhsa_exception_fp_ieee_overflow 0
		.amdhsa_exception_fp_ieee_underflow 0
		.amdhsa_exception_fp_ieee_inexact 0
		.amdhsa_exception_int_div_zero 0
	.end_amdhsa_kernel
	.section	.text._Z16warp_load_kernelILj256ELj4ELj32ELN6hipcub17WarpLoadAlgorithmE1EiEvPT3_S3_,"axG",@progbits,_Z16warp_load_kernelILj256ELj4ELj32ELN6hipcub17WarpLoadAlgorithmE1EiEvPT3_S3_,comdat
.Lfunc_end1:
	.size	_Z16warp_load_kernelILj256ELj4ELj32ELN6hipcub17WarpLoadAlgorithmE1EiEvPT3_S3_, .Lfunc_end1-_Z16warp_load_kernelILj256ELj4ELj32ELN6hipcub17WarpLoadAlgorithmE1EiEvPT3_S3_
                                        ; -- End function
	.set _Z16warp_load_kernelILj256ELj4ELj32ELN6hipcub17WarpLoadAlgorithmE1EiEvPT3_S3_.num_vgpr, 13
	.set _Z16warp_load_kernelILj256ELj4ELj32ELN6hipcub17WarpLoadAlgorithmE1EiEvPT3_S3_.num_agpr, 0
	.set _Z16warp_load_kernelILj256ELj4ELj32ELN6hipcub17WarpLoadAlgorithmE1EiEvPT3_S3_.numbered_sgpr, 5
	.set _Z16warp_load_kernelILj256ELj4ELj32ELN6hipcub17WarpLoadAlgorithmE1EiEvPT3_S3_.num_named_barrier, 0
	.set _Z16warp_load_kernelILj256ELj4ELj32ELN6hipcub17WarpLoadAlgorithmE1EiEvPT3_S3_.private_seg_size, 0
	.set _Z16warp_load_kernelILj256ELj4ELj32ELN6hipcub17WarpLoadAlgorithmE1EiEvPT3_S3_.uses_vcc, 1
	.set _Z16warp_load_kernelILj256ELj4ELj32ELN6hipcub17WarpLoadAlgorithmE1EiEvPT3_S3_.uses_flat_scratch, 0
	.set _Z16warp_load_kernelILj256ELj4ELj32ELN6hipcub17WarpLoadAlgorithmE1EiEvPT3_S3_.has_dyn_sized_stack, 0
	.set _Z16warp_load_kernelILj256ELj4ELj32ELN6hipcub17WarpLoadAlgorithmE1EiEvPT3_S3_.has_recursion, 0
	.set _Z16warp_load_kernelILj256ELj4ELj32ELN6hipcub17WarpLoadAlgorithmE1EiEvPT3_S3_.has_indirect_call, 0
	.section	.AMDGPU.csdata,"",@progbits
; Kernel info:
; codeLenInByte = 364
; TotalNumSgprs: 7
; NumVgprs: 13
; ScratchSize: 0
; MemoryBound: 0
; FloatMode: 240
; IeeeMode: 1
; LDSByteSize: 0 bytes/workgroup (compile time only)
; SGPRBlocks: 0
; VGPRBlocks: 1
; NumSGPRsForWavesPerEU: 7
; NumVGPRsForWavesPerEU: 13
; Occupancy: 16
; WaveLimiterHint : 1
; COMPUTE_PGM_RSRC2:SCRATCH_EN: 0
; COMPUTE_PGM_RSRC2:USER_SGPR: 2
; COMPUTE_PGM_RSRC2:TRAP_HANDLER: 0
; COMPUTE_PGM_RSRC2:TGID_X_EN: 1
; COMPUTE_PGM_RSRC2:TGID_Y_EN: 0
; COMPUTE_PGM_RSRC2:TGID_Z_EN: 0
; COMPUTE_PGM_RSRC2:TIDIG_COMP_CNT: 0
	.section	.text._Z16warp_load_kernelILj256ELj4ELj32ELN6hipcub17WarpLoadAlgorithmE2EiEvPT3_S3_,"axG",@progbits,_Z16warp_load_kernelILj256ELj4ELj32ELN6hipcub17WarpLoadAlgorithmE2EiEvPT3_S3_,comdat
	.protected	_Z16warp_load_kernelILj256ELj4ELj32ELN6hipcub17WarpLoadAlgorithmE2EiEvPT3_S3_ ; -- Begin function _Z16warp_load_kernelILj256ELj4ELj32ELN6hipcub17WarpLoadAlgorithmE2EiEvPT3_S3_
	.globl	_Z16warp_load_kernelILj256ELj4ELj32ELN6hipcub17WarpLoadAlgorithmE2EiEvPT3_S3_
	.p2align	8
	.type	_Z16warp_load_kernelILj256ELj4ELj32ELN6hipcub17WarpLoadAlgorithmE2EiEvPT3_S3_,@function
_Z16warp_load_kernelILj256ELj4ELj32ELN6hipcub17WarpLoadAlgorithmE2EiEvPT3_S3_: ; @_Z16warp_load_kernelILj256ELj4ELj32ELN6hipcub17WarpLoadAlgorithmE2EiEvPT3_S3_
; %bb.0:
	s_load_b128 s[0:3], s[0:1], 0x0
	v_dual_mov_b32 v6, 0 :: v_dual_lshlrev_b32 v1, 2, v0
	s_lshl_b32 s4, ttmp9, 10
	v_mbcnt_lo_u32_b32 v3, -1, 0
	s_delay_alu instid0(VALU_DEP_2) | instskip(NEXT) | instid1(VALU_DEP_3)
	v_and_or_b32 v5, 0x380, v1, s4
	v_mov_b32_e32 v8, v6
	s_delay_alu instid0(VALU_DEP_3) | instskip(NEXT) | instid1(VALU_DEP_3)
	v_dual_mov_b32 v10, v6 :: v_dual_lshlrev_b32 v3, 4, v3
	v_lshlrev_b64_e32 v[1:2], 2, v[5:6]
	v_or_b32_e32 v5, s4, v0
	s_delay_alu instid0(VALU_DEP_1) | instskip(SKIP_4) | instid1(VALU_DEP_1)
	v_or_b32_e32 v7, 0x100, v5
	v_or_b32_e32 v9, 0x200, v5
	v_lshlrev_b64_e32 v[11:12], 2, v[5:6]
	s_wait_kmcnt 0x0
	v_add_co_u32 v1, vcc_lo, s0, v1
	v_add_co_ci_u32_e64 v2, null, s1, v2, vcc_lo
	v_or_b32_e32 v5, 0x300, v5
	s_delay_alu instid0(VALU_DEP_3) | instskip(SKIP_1) | instid1(VALU_DEP_3)
	v_add_co_u32 v1, vcc_lo, v1, v3
	s_wait_alu 0xfffd
	v_add_co_ci_u32_e64 v2, null, 0, v2, vcc_lo
	v_lshlrev_b64_e32 v[7:8], 2, v[7:8]
	v_lshlrev_b64_e32 v[9:10], 2, v[9:10]
	;; [unrolled: 1-line block ×3, first 2 shown]
	global_load_b128 v[1:4], v[1:2], off
	v_add_co_u32 v11, vcc_lo, s2, v11
	s_wait_alu 0xfffd
	v_add_co_ci_u32_e64 v12, null, s3, v12, vcc_lo
	v_add_co_u32 v7, vcc_lo, s2, v7
	s_wait_alu 0xfffd
	v_add_co_ci_u32_e64 v8, null, s3, v8, vcc_lo
	;; [unrolled: 3-line block ×4, first 2 shown]
	s_wait_loadcnt 0x0
	s_clause 0x3
	global_store_b32 v[11:12], v1, off
	global_store_b32 v[7:8], v2, off
	global_store_b32 v[9:10], v3, off
	global_store_b32 v[5:6], v4, off
	s_endpgm
	.section	.rodata,"a",@progbits
	.p2align	6, 0x0
	.amdhsa_kernel _Z16warp_load_kernelILj256ELj4ELj32ELN6hipcub17WarpLoadAlgorithmE2EiEvPT3_S3_
		.amdhsa_group_segment_fixed_size 0
		.amdhsa_private_segment_fixed_size 0
		.amdhsa_kernarg_size 16
		.amdhsa_user_sgpr_count 2
		.amdhsa_user_sgpr_dispatch_ptr 0
		.amdhsa_user_sgpr_queue_ptr 0
		.amdhsa_user_sgpr_kernarg_segment_ptr 1
		.amdhsa_user_sgpr_dispatch_id 0
		.amdhsa_user_sgpr_private_segment_size 0
		.amdhsa_wavefront_size32 1
		.amdhsa_uses_dynamic_stack 0
		.amdhsa_enable_private_segment 0
		.amdhsa_system_sgpr_workgroup_id_x 1
		.amdhsa_system_sgpr_workgroup_id_y 0
		.amdhsa_system_sgpr_workgroup_id_z 0
		.amdhsa_system_sgpr_workgroup_info 0
		.amdhsa_system_vgpr_workitem_id 0
		.amdhsa_next_free_vgpr 13
		.amdhsa_next_free_sgpr 5
		.amdhsa_reserve_vcc 1
		.amdhsa_float_round_mode_32 0
		.amdhsa_float_round_mode_16_64 0
		.amdhsa_float_denorm_mode_32 3
		.amdhsa_float_denorm_mode_16_64 3
		.amdhsa_fp16_overflow 0
		.amdhsa_workgroup_processor_mode 1
		.amdhsa_memory_ordered 1
		.amdhsa_forward_progress 1
		.amdhsa_inst_pref_size 3
		.amdhsa_round_robin_scheduling 0
		.amdhsa_exception_fp_ieee_invalid_op 0
		.amdhsa_exception_fp_denorm_src 0
		.amdhsa_exception_fp_ieee_div_zero 0
		.amdhsa_exception_fp_ieee_overflow 0
		.amdhsa_exception_fp_ieee_underflow 0
		.amdhsa_exception_fp_ieee_inexact 0
		.amdhsa_exception_int_div_zero 0
	.end_amdhsa_kernel
	.section	.text._Z16warp_load_kernelILj256ELj4ELj32ELN6hipcub17WarpLoadAlgorithmE2EiEvPT3_S3_,"axG",@progbits,_Z16warp_load_kernelILj256ELj4ELj32ELN6hipcub17WarpLoadAlgorithmE2EiEvPT3_S3_,comdat
.Lfunc_end2:
	.size	_Z16warp_load_kernelILj256ELj4ELj32ELN6hipcub17WarpLoadAlgorithmE2EiEvPT3_S3_, .Lfunc_end2-_Z16warp_load_kernelILj256ELj4ELj32ELN6hipcub17WarpLoadAlgorithmE2EiEvPT3_S3_
                                        ; -- End function
	.set _Z16warp_load_kernelILj256ELj4ELj32ELN6hipcub17WarpLoadAlgorithmE2EiEvPT3_S3_.num_vgpr, 13
	.set _Z16warp_load_kernelILj256ELj4ELj32ELN6hipcub17WarpLoadAlgorithmE2EiEvPT3_S3_.num_agpr, 0
	.set _Z16warp_load_kernelILj256ELj4ELj32ELN6hipcub17WarpLoadAlgorithmE2EiEvPT3_S3_.numbered_sgpr, 5
	.set _Z16warp_load_kernelILj256ELj4ELj32ELN6hipcub17WarpLoadAlgorithmE2EiEvPT3_S3_.num_named_barrier, 0
	.set _Z16warp_load_kernelILj256ELj4ELj32ELN6hipcub17WarpLoadAlgorithmE2EiEvPT3_S3_.private_seg_size, 0
	.set _Z16warp_load_kernelILj256ELj4ELj32ELN6hipcub17WarpLoadAlgorithmE2EiEvPT3_S3_.uses_vcc, 1
	.set _Z16warp_load_kernelILj256ELj4ELj32ELN6hipcub17WarpLoadAlgorithmE2EiEvPT3_S3_.uses_flat_scratch, 0
	.set _Z16warp_load_kernelILj256ELj4ELj32ELN6hipcub17WarpLoadAlgorithmE2EiEvPT3_S3_.has_dyn_sized_stack, 0
	.set _Z16warp_load_kernelILj256ELj4ELj32ELN6hipcub17WarpLoadAlgorithmE2EiEvPT3_S3_.has_recursion, 0
	.set _Z16warp_load_kernelILj256ELj4ELj32ELN6hipcub17WarpLoadAlgorithmE2EiEvPT3_S3_.has_indirect_call, 0
	.section	.AMDGPU.csdata,"",@progbits
; Kernel info:
; codeLenInByte = 308
; TotalNumSgprs: 7
; NumVgprs: 13
; ScratchSize: 0
; MemoryBound: 0
; FloatMode: 240
; IeeeMode: 1
; LDSByteSize: 0 bytes/workgroup (compile time only)
; SGPRBlocks: 0
; VGPRBlocks: 1
; NumSGPRsForWavesPerEU: 7
; NumVGPRsForWavesPerEU: 13
; Occupancy: 16
; WaveLimiterHint : 0
; COMPUTE_PGM_RSRC2:SCRATCH_EN: 0
; COMPUTE_PGM_RSRC2:USER_SGPR: 2
; COMPUTE_PGM_RSRC2:TRAP_HANDLER: 0
; COMPUTE_PGM_RSRC2:TGID_X_EN: 1
; COMPUTE_PGM_RSRC2:TGID_Y_EN: 0
; COMPUTE_PGM_RSRC2:TGID_Z_EN: 0
; COMPUTE_PGM_RSRC2:TIDIG_COMP_CNT: 0
	.section	.text._Z16warp_load_kernelILj256ELj4ELj32ELN6hipcub17WarpLoadAlgorithmE3EiEvPT3_S3_,"axG",@progbits,_Z16warp_load_kernelILj256ELj4ELj32ELN6hipcub17WarpLoadAlgorithmE3EiEvPT3_S3_,comdat
	.protected	_Z16warp_load_kernelILj256ELj4ELj32ELN6hipcub17WarpLoadAlgorithmE3EiEvPT3_S3_ ; -- Begin function _Z16warp_load_kernelILj256ELj4ELj32ELN6hipcub17WarpLoadAlgorithmE3EiEvPT3_S3_
	.globl	_Z16warp_load_kernelILj256ELj4ELj32ELN6hipcub17WarpLoadAlgorithmE3EiEvPT3_S3_
	.p2align	8
	.type	_Z16warp_load_kernelILj256ELj4ELj32ELN6hipcub17WarpLoadAlgorithmE3EiEvPT3_S3_,@function
_Z16warp_load_kernelILj256ELj4ELj32ELN6hipcub17WarpLoadAlgorithmE3EiEvPT3_S3_: ; @_Z16warp_load_kernelILj256ELj4ELj32ELN6hipcub17WarpLoadAlgorithmE3EiEvPT3_S3_
; %bb.0:
	s_load_b128 s[0:3], s[0:1], 0x0
	v_lshrrev_b32_e32 v3, 5, v0
	s_lshl_b32 s4, ttmp9, 10
	v_mbcnt_lo_u32_b32 v6, -1, 0
	v_mov_b32_e32 v5, 0
	s_delay_alu instid0(VALU_DEP_3) | instskip(SKIP_1) | instid1(VALU_DEP_3)
	v_lshl_or_b32 v4, v3, 7, s4
	v_lshlrev_b32_e32 v3, 9, v3
	v_dual_mov_b32 v7, v5 :: v_dual_lshlrev_b32 v8, 2, v6
	s_delay_alu instid0(VALU_DEP_3) | instskip(SKIP_1) | instid1(VALU_DEP_3)
	v_lshlrev_b64_e32 v[1:2], 2, v[4:5]
	v_or_b32_e32 v4, s4, v0
	v_or_b32_e32 v15, v3, v8
	v_lshl_or_b32 v3, v6, 4, v3
	s_delay_alu instid0(VALU_DEP_3) | instskip(SKIP_3) | instid1(VALU_DEP_1)
	v_or_b32_e32 v0, 0x100, v4
	v_or_b32_e32 v6, 0x200, v4
	s_wait_kmcnt 0x0
	v_add_co_u32 v1, vcc_lo, s0, v1
	v_add_co_ci_u32_e64 v2, null, s1, v2, vcc_lo
	s_delay_alu instid0(VALU_DEP_3) | instskip(NEXT) | instid1(VALU_DEP_3)
	v_lshlrev_b64_e32 v[6:7], 2, v[6:7]
	v_add_co_u32 v1, vcc_lo, v1, v8
	s_wait_alu 0xfffd
	s_delay_alu instid0(VALU_DEP_3)
	v_add_co_ci_u32_e64 v2, null, 0, v2, vcc_lo
	v_lshlrev_b64_e32 v[8:9], 2, v[4:5]
	v_or_b32_e32 v4, 0x300, v4
	s_clause 0x3
	global_load_b32 v12, v[1:2], off
	global_load_b32 v13, v[1:2], off offset:128
	global_load_b32 v14, v[1:2], off offset:256
	;; [unrolled: 1-line block ×3, first 2 shown]
	v_mov_b32_e32 v1, v5
	s_wait_loadcnt 0x2
	ds_store_2addr_b32 v15, v12, v13 offset1:32
	s_wait_loadcnt 0x0
	ds_store_2addr_b32 v15, v14, v2 offset0:64 offset1:96
	v_lshlrev_b64_e32 v[10:11], 2, v[0:1]
	; wave barrier
	ds_load_b128 v[0:3], v3
	v_lshlrev_b64_e32 v[4:5], 2, v[4:5]
	v_add_co_u32 v8, vcc_lo, s2, v8
	s_wait_alu 0xfffd
	v_add_co_ci_u32_e64 v9, null, s3, v9, vcc_lo
	v_add_co_u32 v10, vcc_lo, s2, v10
	s_wait_alu 0xfffd
	v_add_co_ci_u32_e64 v11, null, s3, v11, vcc_lo
	;; [unrolled: 3-line block ×4, first 2 shown]
	s_wait_dscnt 0x0
	s_clause 0x3
	global_store_b32 v[8:9], v0, off
	global_store_b32 v[10:11], v1, off
	;; [unrolled: 1-line block ×4, first 2 shown]
	s_endpgm
	.section	.rodata,"a",@progbits
	.p2align	6, 0x0
	.amdhsa_kernel _Z16warp_load_kernelILj256ELj4ELj32ELN6hipcub17WarpLoadAlgorithmE3EiEvPT3_S3_
		.amdhsa_group_segment_fixed_size 4096
		.amdhsa_private_segment_fixed_size 0
		.amdhsa_kernarg_size 16
		.amdhsa_user_sgpr_count 2
		.amdhsa_user_sgpr_dispatch_ptr 0
		.amdhsa_user_sgpr_queue_ptr 0
		.amdhsa_user_sgpr_kernarg_segment_ptr 1
		.amdhsa_user_sgpr_dispatch_id 0
		.amdhsa_user_sgpr_private_segment_size 0
		.amdhsa_wavefront_size32 1
		.amdhsa_uses_dynamic_stack 0
		.amdhsa_enable_private_segment 0
		.amdhsa_system_sgpr_workgroup_id_x 1
		.amdhsa_system_sgpr_workgroup_id_y 0
		.amdhsa_system_sgpr_workgroup_id_z 0
		.amdhsa_system_sgpr_workgroup_info 0
		.amdhsa_system_vgpr_workitem_id 0
		.amdhsa_next_free_vgpr 16
		.amdhsa_next_free_sgpr 5
		.amdhsa_reserve_vcc 1
		.amdhsa_float_round_mode_32 0
		.amdhsa_float_round_mode_16_64 0
		.amdhsa_float_denorm_mode_32 3
		.amdhsa_float_denorm_mode_16_64 3
		.amdhsa_fp16_overflow 0
		.amdhsa_workgroup_processor_mode 1
		.amdhsa_memory_ordered 1
		.amdhsa_forward_progress 1
		.amdhsa_inst_pref_size 4
		.amdhsa_round_robin_scheduling 0
		.amdhsa_exception_fp_ieee_invalid_op 0
		.amdhsa_exception_fp_denorm_src 0
		.amdhsa_exception_fp_ieee_div_zero 0
		.amdhsa_exception_fp_ieee_overflow 0
		.amdhsa_exception_fp_ieee_underflow 0
		.amdhsa_exception_fp_ieee_inexact 0
		.amdhsa_exception_int_div_zero 0
	.end_amdhsa_kernel
	.section	.text._Z16warp_load_kernelILj256ELj4ELj32ELN6hipcub17WarpLoadAlgorithmE3EiEvPT3_S3_,"axG",@progbits,_Z16warp_load_kernelILj256ELj4ELj32ELN6hipcub17WarpLoadAlgorithmE3EiEvPT3_S3_,comdat
.Lfunc_end3:
	.size	_Z16warp_load_kernelILj256ELj4ELj32ELN6hipcub17WarpLoadAlgorithmE3EiEvPT3_S3_, .Lfunc_end3-_Z16warp_load_kernelILj256ELj4ELj32ELN6hipcub17WarpLoadAlgorithmE3EiEvPT3_S3_
                                        ; -- End function
	.set _Z16warp_load_kernelILj256ELj4ELj32ELN6hipcub17WarpLoadAlgorithmE3EiEvPT3_S3_.num_vgpr, 16
	.set _Z16warp_load_kernelILj256ELj4ELj32ELN6hipcub17WarpLoadAlgorithmE3EiEvPT3_S3_.num_agpr, 0
	.set _Z16warp_load_kernelILj256ELj4ELj32ELN6hipcub17WarpLoadAlgorithmE3EiEvPT3_S3_.numbered_sgpr, 5
	.set _Z16warp_load_kernelILj256ELj4ELj32ELN6hipcub17WarpLoadAlgorithmE3EiEvPT3_S3_.num_named_barrier, 0
	.set _Z16warp_load_kernelILj256ELj4ELj32ELN6hipcub17WarpLoadAlgorithmE3EiEvPT3_S3_.private_seg_size, 0
	.set _Z16warp_load_kernelILj256ELj4ELj32ELN6hipcub17WarpLoadAlgorithmE3EiEvPT3_S3_.uses_vcc, 1
	.set _Z16warp_load_kernelILj256ELj4ELj32ELN6hipcub17WarpLoadAlgorithmE3EiEvPT3_S3_.uses_flat_scratch, 0
	.set _Z16warp_load_kernelILj256ELj4ELj32ELN6hipcub17WarpLoadAlgorithmE3EiEvPT3_S3_.has_dyn_sized_stack, 0
	.set _Z16warp_load_kernelILj256ELj4ELj32ELN6hipcub17WarpLoadAlgorithmE3EiEvPT3_S3_.has_recursion, 0
	.set _Z16warp_load_kernelILj256ELj4ELj32ELN6hipcub17WarpLoadAlgorithmE3EiEvPT3_S3_.has_indirect_call, 0
	.section	.AMDGPU.csdata,"",@progbits
; Kernel info:
; codeLenInByte = 396
; TotalNumSgprs: 7
; NumVgprs: 16
; ScratchSize: 0
; MemoryBound: 0
; FloatMode: 240
; IeeeMode: 1
; LDSByteSize: 4096 bytes/workgroup (compile time only)
; SGPRBlocks: 0
; VGPRBlocks: 1
; NumSGPRsForWavesPerEU: 7
; NumVGPRsForWavesPerEU: 16
; Occupancy: 16
; WaveLimiterHint : 1
; COMPUTE_PGM_RSRC2:SCRATCH_EN: 0
; COMPUTE_PGM_RSRC2:USER_SGPR: 2
; COMPUTE_PGM_RSRC2:TRAP_HANDLER: 0
; COMPUTE_PGM_RSRC2:TGID_X_EN: 1
; COMPUTE_PGM_RSRC2:TGID_Y_EN: 0
; COMPUTE_PGM_RSRC2:TGID_Z_EN: 0
; COMPUTE_PGM_RSRC2:TIDIG_COMP_CNT: 0
	.section	.text._Z16warp_load_kernelILj256ELj8ELj32ELN6hipcub17WarpLoadAlgorithmE0EiEvPT3_S3_,"axG",@progbits,_Z16warp_load_kernelILj256ELj8ELj32ELN6hipcub17WarpLoadAlgorithmE0EiEvPT3_S3_,comdat
	.protected	_Z16warp_load_kernelILj256ELj8ELj32ELN6hipcub17WarpLoadAlgorithmE0EiEvPT3_S3_ ; -- Begin function _Z16warp_load_kernelILj256ELj8ELj32ELN6hipcub17WarpLoadAlgorithmE0EiEvPT3_S3_
	.globl	_Z16warp_load_kernelILj256ELj8ELj32ELN6hipcub17WarpLoadAlgorithmE0EiEvPT3_S3_
	.p2align	8
	.type	_Z16warp_load_kernelILj256ELj8ELj32ELN6hipcub17WarpLoadAlgorithmE0EiEvPT3_S3_,@function
_Z16warp_load_kernelILj256ELj8ELj32ELN6hipcub17WarpLoadAlgorithmE0EiEvPT3_S3_: ; @_Z16warp_load_kernelILj256ELj8ELj32ELN6hipcub17WarpLoadAlgorithmE0EiEvPT3_S3_
; %bb.0:
	s_load_b128 s[0:3], s[0:1], 0x0
	v_dual_mov_b32 v10, 0 :: v_dual_lshlrev_b32 v1, 3, v0
	s_lshl_b32 s4, ttmp9, 11
	v_mbcnt_lo_u32_b32 v3, -1, 0
	s_delay_alu instid0(VALU_DEP_2) | instskip(NEXT) | instid1(VALU_DEP_3)
	v_and_or_b32 v9, 0x700, v1, s4
	v_mov_b32_e32 v12, v10
	s_delay_alu instid0(VALU_DEP_3) | instskip(NEXT) | instid1(VALU_DEP_3)
	v_dual_mov_b32 v14, v10 :: v_dual_lshlrev_b32 v3, 5, v3
	v_lshlrev_b64_e32 v[1:2], 2, v[9:10]
	v_or_b32_e32 v9, s4, v0
	s_delay_alu instid0(VALU_DEP_1) | instskip(SKIP_4) | instid1(VALU_DEP_1)
	v_or_b32_e32 v11, 0x500, v9
	v_or_b32_e32 v13, 0x600, v9
	v_lshlrev_b64_e32 v[15:16], 2, v[9:10]
	s_wait_kmcnt 0x0
	v_add_co_u32 v1, vcc_lo, s0, v1
	v_add_co_ci_u32_e64 v2, null, s1, v2, vcc_lo
	v_or_b32_e32 v9, 0x700, v9
	s_delay_alu instid0(VALU_DEP_3) | instskip(SKIP_1) | instid1(VALU_DEP_3)
	v_add_co_u32 v5, vcc_lo, v1, v3
	s_wait_alu 0xfffd
	v_add_co_ci_u32_e64 v6, null, 0, v2, vcc_lo
	v_lshlrev_b64_e32 v[11:12], 2, v[11:12]
	v_lshlrev_b64_e32 v[13:14], 2, v[13:14]
	;; [unrolled: 1-line block ×3, first 2 shown]
	s_clause 0x1
	global_load_b128 v[1:4], v[5:6], off
	global_load_b128 v[5:8], v[5:6], off offset:16
	v_add_co_u32 v15, vcc_lo, s2, v15
	s_wait_alu 0xfffd
	v_add_co_ci_u32_e64 v16, null, s3, v16, vcc_lo
	v_add_co_u32 v11, vcc_lo, s2, v11
	s_wait_alu 0xfffd
	v_add_co_ci_u32_e64 v12, null, s3, v12, vcc_lo
	;; [unrolled: 3-line block ×4, first 2 shown]
	s_wait_loadcnt 0x1
	s_clause 0x3
	global_store_b32 v[15:16], v1, off
	global_store_b32 v[15:16], v2, off offset:1024
	global_store_b32 v[15:16], v3, off offset:2048
	;; [unrolled: 1-line block ×3, first 2 shown]
	s_wait_loadcnt 0x0
	s_clause 0x3
	global_store_b32 v[15:16], v5, off offset:4096
	global_store_b32 v[11:12], v6, off
	global_store_b32 v[13:14], v7, off
	;; [unrolled: 1-line block ×3, first 2 shown]
	s_endpgm
	.section	.rodata,"a",@progbits
	.p2align	6, 0x0
	.amdhsa_kernel _Z16warp_load_kernelILj256ELj8ELj32ELN6hipcub17WarpLoadAlgorithmE0EiEvPT3_S3_
		.amdhsa_group_segment_fixed_size 0
		.amdhsa_private_segment_fixed_size 0
		.amdhsa_kernarg_size 16
		.amdhsa_user_sgpr_count 2
		.amdhsa_user_sgpr_dispatch_ptr 0
		.amdhsa_user_sgpr_queue_ptr 0
		.amdhsa_user_sgpr_kernarg_segment_ptr 1
		.amdhsa_user_sgpr_dispatch_id 0
		.amdhsa_user_sgpr_private_segment_size 0
		.amdhsa_wavefront_size32 1
		.amdhsa_uses_dynamic_stack 0
		.amdhsa_enable_private_segment 0
		.amdhsa_system_sgpr_workgroup_id_x 1
		.amdhsa_system_sgpr_workgroup_id_y 0
		.amdhsa_system_sgpr_workgroup_id_z 0
		.amdhsa_system_sgpr_workgroup_info 0
		.amdhsa_system_vgpr_workitem_id 0
		.amdhsa_next_free_vgpr 17
		.amdhsa_next_free_sgpr 5
		.amdhsa_reserve_vcc 1
		.amdhsa_float_round_mode_32 0
		.amdhsa_float_round_mode_16_64 0
		.amdhsa_float_denorm_mode_32 3
		.amdhsa_float_denorm_mode_16_64 3
		.amdhsa_fp16_overflow 0
		.amdhsa_workgroup_processor_mode 1
		.amdhsa_memory_ordered 1
		.amdhsa_forward_progress 1
		.amdhsa_inst_pref_size 3
		.amdhsa_round_robin_scheduling 0
		.amdhsa_exception_fp_ieee_invalid_op 0
		.amdhsa_exception_fp_denorm_src 0
		.amdhsa_exception_fp_ieee_div_zero 0
		.amdhsa_exception_fp_ieee_overflow 0
		.amdhsa_exception_fp_ieee_underflow 0
		.amdhsa_exception_fp_ieee_inexact 0
		.amdhsa_exception_int_div_zero 0
	.end_amdhsa_kernel
	.section	.text._Z16warp_load_kernelILj256ELj8ELj32ELN6hipcub17WarpLoadAlgorithmE0EiEvPT3_S3_,"axG",@progbits,_Z16warp_load_kernelILj256ELj8ELj32ELN6hipcub17WarpLoadAlgorithmE0EiEvPT3_S3_,comdat
.Lfunc_end4:
	.size	_Z16warp_load_kernelILj256ELj8ELj32ELN6hipcub17WarpLoadAlgorithmE0EiEvPT3_S3_, .Lfunc_end4-_Z16warp_load_kernelILj256ELj8ELj32ELN6hipcub17WarpLoadAlgorithmE0EiEvPT3_S3_
                                        ; -- End function
	.set _Z16warp_load_kernelILj256ELj8ELj32ELN6hipcub17WarpLoadAlgorithmE0EiEvPT3_S3_.num_vgpr, 17
	.set _Z16warp_load_kernelILj256ELj8ELj32ELN6hipcub17WarpLoadAlgorithmE0EiEvPT3_S3_.num_agpr, 0
	.set _Z16warp_load_kernelILj256ELj8ELj32ELN6hipcub17WarpLoadAlgorithmE0EiEvPT3_S3_.numbered_sgpr, 5
	.set _Z16warp_load_kernelILj256ELj8ELj32ELN6hipcub17WarpLoadAlgorithmE0EiEvPT3_S3_.num_named_barrier, 0
	.set _Z16warp_load_kernelILj256ELj8ELj32ELN6hipcub17WarpLoadAlgorithmE0EiEvPT3_S3_.private_seg_size, 0
	.set _Z16warp_load_kernelILj256ELj8ELj32ELN6hipcub17WarpLoadAlgorithmE0EiEvPT3_S3_.uses_vcc, 1
	.set _Z16warp_load_kernelILj256ELj8ELj32ELN6hipcub17WarpLoadAlgorithmE0EiEvPT3_S3_.uses_flat_scratch, 0
	.set _Z16warp_load_kernelILj256ELj8ELj32ELN6hipcub17WarpLoadAlgorithmE0EiEvPT3_S3_.has_dyn_sized_stack, 0
	.set _Z16warp_load_kernelILj256ELj8ELj32ELN6hipcub17WarpLoadAlgorithmE0EiEvPT3_S3_.has_recursion, 0
	.set _Z16warp_load_kernelILj256ELj8ELj32ELN6hipcub17WarpLoadAlgorithmE0EiEvPT3_S3_.has_indirect_call, 0
	.section	.AMDGPU.csdata,"",@progbits
; Kernel info:
; codeLenInByte = 380
; TotalNumSgprs: 7
; NumVgprs: 17
; ScratchSize: 0
; MemoryBound: 0
; FloatMode: 240
; IeeeMode: 1
; LDSByteSize: 0 bytes/workgroup (compile time only)
; SGPRBlocks: 0
; VGPRBlocks: 2
; NumSGPRsForWavesPerEU: 7
; NumVGPRsForWavesPerEU: 17
; Occupancy: 16
; WaveLimiterHint : 1
; COMPUTE_PGM_RSRC2:SCRATCH_EN: 0
; COMPUTE_PGM_RSRC2:USER_SGPR: 2
; COMPUTE_PGM_RSRC2:TRAP_HANDLER: 0
; COMPUTE_PGM_RSRC2:TGID_X_EN: 1
; COMPUTE_PGM_RSRC2:TGID_Y_EN: 0
; COMPUTE_PGM_RSRC2:TGID_Z_EN: 0
; COMPUTE_PGM_RSRC2:TIDIG_COMP_CNT: 0
	.section	.text._Z16warp_load_kernelILj256ELj8ELj32ELN6hipcub17WarpLoadAlgorithmE1EiEvPT3_S3_,"axG",@progbits,_Z16warp_load_kernelILj256ELj8ELj32ELN6hipcub17WarpLoadAlgorithmE1EiEvPT3_S3_,comdat
	.protected	_Z16warp_load_kernelILj256ELj8ELj32ELN6hipcub17WarpLoadAlgorithmE1EiEvPT3_S3_ ; -- Begin function _Z16warp_load_kernelILj256ELj8ELj32ELN6hipcub17WarpLoadAlgorithmE1EiEvPT3_S3_
	.globl	_Z16warp_load_kernelILj256ELj8ELj32ELN6hipcub17WarpLoadAlgorithmE1EiEvPT3_S3_
	.p2align	8
	.type	_Z16warp_load_kernelILj256ELj8ELj32ELN6hipcub17WarpLoadAlgorithmE1EiEvPT3_S3_,@function
_Z16warp_load_kernelILj256ELj8ELj32ELN6hipcub17WarpLoadAlgorithmE1EiEvPT3_S3_: ; @_Z16warp_load_kernelILj256ELj8ELj32ELN6hipcub17WarpLoadAlgorithmE1EiEvPT3_S3_
; %bb.0:
	s_load_b128 s[0:3], s[0:1], 0x0
	v_dual_mov_b32 v2, 0 :: v_dual_lshlrev_b32 v1, 3, v0
	s_lshl_b32 s4, ttmp9, 11
	v_mbcnt_lo_u32_b32 v5, -1, 0
	s_delay_alu instid0(VALU_DEP_2) | instskip(NEXT) | instid1(VALU_DEP_3)
	v_and_or_b32 v1, 0x700, v1, s4
	v_mov_b32_e32 v6, v2
	s_delay_alu instid0(VALU_DEP_2) | instskip(NEXT) | instid1(VALU_DEP_4)
	v_lshlrev_b64_e32 v[3:4], 2, v[1:2]
	v_lshlrev_b32_e32 v1, 2, v5
	s_wait_kmcnt 0x0
	s_delay_alu instid0(VALU_DEP_2) | instskip(NEXT) | instid1(VALU_DEP_1)
	v_add_co_u32 v3, vcc_lo, s0, v3
	v_add_co_ci_u32_e64 v4, null, s1, v4, vcc_lo
	s_delay_alu instid0(VALU_DEP_2) | instskip(SKIP_1) | instid1(VALU_DEP_2)
	v_add_co_u32 v3, vcc_lo, v3, v1
	s_wait_alu 0xfffd
	v_add_co_ci_u32_e64 v4, null, 0, v4, vcc_lo
	v_or_b32_e32 v1, s4, v0
	s_clause 0x7
	global_load_b32 v9, v[3:4], off
	global_load_b32 v10, v[3:4], off offset:128
	global_load_b32 v11, v[3:4], off offset:256
	;; [unrolled: 1-line block ×7, first 2 shown]
	v_mov_b32_e32 v4, v2
	v_or_b32_e32 v3, 0x500, v1
	v_or_b32_e32 v5, 0x600, v1
	v_lshlrev_b64_e32 v[7:8], 2, v[1:2]
	v_or_b32_e32 v1, 0x700, v1
	s_delay_alu instid0(VALU_DEP_4) | instskip(NEXT) | instid1(VALU_DEP_4)
	v_lshlrev_b64_e32 v[3:4], 2, v[3:4]
	v_lshlrev_b64_e32 v[5:6], 2, v[5:6]
	s_delay_alu instid0(VALU_DEP_3)
	v_lshlrev_b64_e32 v[0:1], 2, v[1:2]
	v_add_co_u32 v7, vcc_lo, s2, v7
	s_wait_alu 0xfffd
	v_add_co_ci_u32_e64 v8, null, s3, v8, vcc_lo
	v_add_co_u32 v2, vcc_lo, s2, v3
	s_wait_alu 0xfffd
	v_add_co_ci_u32_e64 v3, null, s3, v4, vcc_lo
	v_add_co_u32 v4, vcc_lo, s2, v5
	s_wait_alu 0xfffd
	v_add_co_ci_u32_e64 v5, null, s3, v6, vcc_lo
	v_add_co_u32 v0, vcc_lo, s2, v0
	s_wait_alu 0xfffd
	v_add_co_ci_u32_e64 v1, null, s3, v1, vcc_lo
	s_wait_loadcnt 0x7
	global_store_b32 v[7:8], v9, off
	s_wait_loadcnt 0x6
	global_store_b32 v[7:8], v10, off offset:1024
	s_wait_loadcnt 0x5
	global_store_b32 v[7:8], v11, off offset:2048
	;; [unrolled: 2-line block ×4, first 2 shown]
	s_wait_loadcnt 0x2
	global_store_b32 v[2:3], v14, off
	s_wait_loadcnt 0x1
	global_store_b32 v[4:5], v15, off
	;; [unrolled: 2-line block ×3, first 2 shown]
	s_endpgm
	.section	.rodata,"a",@progbits
	.p2align	6, 0x0
	.amdhsa_kernel _Z16warp_load_kernelILj256ELj8ELj32ELN6hipcub17WarpLoadAlgorithmE1EiEvPT3_S3_
		.amdhsa_group_segment_fixed_size 0
		.amdhsa_private_segment_fixed_size 0
		.amdhsa_kernarg_size 16
		.amdhsa_user_sgpr_count 2
		.amdhsa_user_sgpr_dispatch_ptr 0
		.amdhsa_user_sgpr_queue_ptr 0
		.amdhsa_user_sgpr_kernarg_segment_ptr 1
		.amdhsa_user_sgpr_dispatch_id 0
		.amdhsa_user_sgpr_private_segment_size 0
		.amdhsa_wavefront_size32 1
		.amdhsa_uses_dynamic_stack 0
		.amdhsa_enable_private_segment 0
		.amdhsa_system_sgpr_workgroup_id_x 1
		.amdhsa_system_sgpr_workgroup_id_y 0
		.amdhsa_system_sgpr_workgroup_id_z 0
		.amdhsa_system_sgpr_workgroup_info 0
		.amdhsa_system_vgpr_workitem_id 0
		.amdhsa_next_free_vgpr 17
		.amdhsa_next_free_sgpr 5
		.amdhsa_reserve_vcc 1
		.amdhsa_float_round_mode_32 0
		.amdhsa_float_round_mode_16_64 0
		.amdhsa_float_denorm_mode_32 3
		.amdhsa_float_denorm_mode_16_64 3
		.amdhsa_fp16_overflow 0
		.amdhsa_workgroup_processor_mode 1
		.amdhsa_memory_ordered 1
		.amdhsa_forward_progress 1
		.amdhsa_inst_pref_size 4
		.amdhsa_round_robin_scheduling 0
		.amdhsa_exception_fp_ieee_invalid_op 0
		.amdhsa_exception_fp_denorm_src 0
		.amdhsa_exception_fp_ieee_div_zero 0
		.amdhsa_exception_fp_ieee_overflow 0
		.amdhsa_exception_fp_ieee_underflow 0
		.amdhsa_exception_fp_ieee_inexact 0
		.amdhsa_exception_int_div_zero 0
	.end_amdhsa_kernel
	.section	.text._Z16warp_load_kernelILj256ELj8ELj32ELN6hipcub17WarpLoadAlgorithmE1EiEvPT3_S3_,"axG",@progbits,_Z16warp_load_kernelILj256ELj8ELj32ELN6hipcub17WarpLoadAlgorithmE1EiEvPT3_S3_,comdat
.Lfunc_end5:
	.size	_Z16warp_load_kernelILj256ELj8ELj32ELN6hipcub17WarpLoadAlgorithmE1EiEvPT3_S3_, .Lfunc_end5-_Z16warp_load_kernelILj256ELj8ELj32ELN6hipcub17WarpLoadAlgorithmE1EiEvPT3_S3_
                                        ; -- End function
	.set _Z16warp_load_kernelILj256ELj8ELj32ELN6hipcub17WarpLoadAlgorithmE1EiEvPT3_S3_.num_vgpr, 17
	.set _Z16warp_load_kernelILj256ELj8ELj32ELN6hipcub17WarpLoadAlgorithmE1EiEvPT3_S3_.num_agpr, 0
	.set _Z16warp_load_kernelILj256ELj8ELj32ELN6hipcub17WarpLoadAlgorithmE1EiEvPT3_S3_.numbered_sgpr, 5
	.set _Z16warp_load_kernelILj256ELj8ELj32ELN6hipcub17WarpLoadAlgorithmE1EiEvPT3_S3_.num_named_barrier, 0
	.set _Z16warp_load_kernelILj256ELj8ELj32ELN6hipcub17WarpLoadAlgorithmE1EiEvPT3_S3_.private_seg_size, 0
	.set _Z16warp_load_kernelILj256ELj8ELj32ELN6hipcub17WarpLoadAlgorithmE1EiEvPT3_S3_.uses_vcc, 1
	.set _Z16warp_load_kernelILj256ELj8ELj32ELN6hipcub17WarpLoadAlgorithmE1EiEvPT3_S3_.uses_flat_scratch, 0
	.set _Z16warp_load_kernelILj256ELj8ELj32ELN6hipcub17WarpLoadAlgorithmE1EiEvPT3_S3_.has_dyn_sized_stack, 0
	.set _Z16warp_load_kernelILj256ELj8ELj32ELN6hipcub17WarpLoadAlgorithmE1EiEvPT3_S3_.has_recursion, 0
	.set _Z16warp_load_kernelILj256ELj8ELj32ELN6hipcub17WarpLoadAlgorithmE1EiEvPT3_S3_.has_indirect_call, 0
	.section	.AMDGPU.csdata,"",@progbits
; Kernel info:
; codeLenInByte = 476
; TotalNumSgprs: 7
; NumVgprs: 17
; ScratchSize: 0
; MemoryBound: 0
; FloatMode: 240
; IeeeMode: 1
; LDSByteSize: 0 bytes/workgroup (compile time only)
; SGPRBlocks: 0
; VGPRBlocks: 2
; NumSGPRsForWavesPerEU: 7
; NumVGPRsForWavesPerEU: 17
; Occupancy: 16
; WaveLimiterHint : 1
; COMPUTE_PGM_RSRC2:SCRATCH_EN: 0
; COMPUTE_PGM_RSRC2:USER_SGPR: 2
; COMPUTE_PGM_RSRC2:TRAP_HANDLER: 0
; COMPUTE_PGM_RSRC2:TGID_X_EN: 1
; COMPUTE_PGM_RSRC2:TGID_Y_EN: 0
; COMPUTE_PGM_RSRC2:TGID_Z_EN: 0
; COMPUTE_PGM_RSRC2:TIDIG_COMP_CNT: 0
	.section	.text._Z16warp_load_kernelILj256ELj8ELj32ELN6hipcub17WarpLoadAlgorithmE2EiEvPT3_S3_,"axG",@progbits,_Z16warp_load_kernelILj256ELj8ELj32ELN6hipcub17WarpLoadAlgorithmE2EiEvPT3_S3_,comdat
	.protected	_Z16warp_load_kernelILj256ELj8ELj32ELN6hipcub17WarpLoadAlgorithmE2EiEvPT3_S3_ ; -- Begin function _Z16warp_load_kernelILj256ELj8ELj32ELN6hipcub17WarpLoadAlgorithmE2EiEvPT3_S3_
	.globl	_Z16warp_load_kernelILj256ELj8ELj32ELN6hipcub17WarpLoadAlgorithmE2EiEvPT3_S3_
	.p2align	8
	.type	_Z16warp_load_kernelILj256ELj8ELj32ELN6hipcub17WarpLoadAlgorithmE2EiEvPT3_S3_,@function
_Z16warp_load_kernelILj256ELj8ELj32ELN6hipcub17WarpLoadAlgorithmE2EiEvPT3_S3_: ; @_Z16warp_load_kernelILj256ELj8ELj32ELN6hipcub17WarpLoadAlgorithmE2EiEvPT3_S3_
; %bb.0:
	s_load_b128 s[0:3], s[0:1], 0x0
	v_dual_mov_b32 v10, 0 :: v_dual_lshlrev_b32 v1, 3, v0
	s_lshl_b32 s4, ttmp9, 11
	v_mbcnt_lo_u32_b32 v3, -1, 0
	s_delay_alu instid0(VALU_DEP_2) | instskip(NEXT) | instid1(VALU_DEP_3)
	v_and_or_b32 v9, 0x700, v1, s4
	v_mov_b32_e32 v12, v10
	s_delay_alu instid0(VALU_DEP_3) | instskip(NEXT) | instid1(VALU_DEP_3)
	v_dual_mov_b32 v14, v10 :: v_dual_lshlrev_b32 v3, 5, v3
	v_lshlrev_b64_e32 v[1:2], 2, v[9:10]
	v_or_b32_e32 v9, s4, v0
	s_delay_alu instid0(VALU_DEP_1) | instskip(SKIP_4) | instid1(VALU_DEP_1)
	v_or_b32_e32 v11, 0x500, v9
	v_or_b32_e32 v13, 0x600, v9
	v_lshlrev_b64_e32 v[15:16], 2, v[9:10]
	s_wait_kmcnt 0x0
	v_add_co_u32 v1, vcc_lo, s0, v1
	v_add_co_ci_u32_e64 v2, null, s1, v2, vcc_lo
	v_or_b32_e32 v9, 0x700, v9
	s_delay_alu instid0(VALU_DEP_3) | instskip(SKIP_1) | instid1(VALU_DEP_3)
	v_add_co_u32 v5, vcc_lo, v1, v3
	s_wait_alu 0xfffd
	v_add_co_ci_u32_e64 v6, null, 0, v2, vcc_lo
	v_lshlrev_b64_e32 v[11:12], 2, v[11:12]
	v_lshlrev_b64_e32 v[13:14], 2, v[13:14]
	;; [unrolled: 1-line block ×3, first 2 shown]
	s_clause 0x1
	global_load_b128 v[1:4], v[5:6], off
	global_load_b128 v[5:8], v[5:6], off offset:16
	v_add_co_u32 v15, vcc_lo, s2, v15
	s_wait_alu 0xfffd
	v_add_co_ci_u32_e64 v16, null, s3, v16, vcc_lo
	v_add_co_u32 v11, vcc_lo, s2, v11
	s_wait_alu 0xfffd
	v_add_co_ci_u32_e64 v12, null, s3, v12, vcc_lo
	;; [unrolled: 3-line block ×4, first 2 shown]
	s_wait_loadcnt 0x1
	s_clause 0x3
	global_store_b32 v[15:16], v1, off
	global_store_b32 v[15:16], v2, off offset:1024
	global_store_b32 v[15:16], v3, off offset:2048
	;; [unrolled: 1-line block ×3, first 2 shown]
	s_wait_loadcnt 0x0
	s_clause 0x3
	global_store_b32 v[15:16], v5, off offset:4096
	global_store_b32 v[11:12], v6, off
	global_store_b32 v[13:14], v7, off
	;; [unrolled: 1-line block ×3, first 2 shown]
	s_endpgm
	.section	.rodata,"a",@progbits
	.p2align	6, 0x0
	.amdhsa_kernel _Z16warp_load_kernelILj256ELj8ELj32ELN6hipcub17WarpLoadAlgorithmE2EiEvPT3_S3_
		.amdhsa_group_segment_fixed_size 0
		.amdhsa_private_segment_fixed_size 0
		.amdhsa_kernarg_size 16
		.amdhsa_user_sgpr_count 2
		.amdhsa_user_sgpr_dispatch_ptr 0
		.amdhsa_user_sgpr_queue_ptr 0
		.amdhsa_user_sgpr_kernarg_segment_ptr 1
		.amdhsa_user_sgpr_dispatch_id 0
		.amdhsa_user_sgpr_private_segment_size 0
		.amdhsa_wavefront_size32 1
		.amdhsa_uses_dynamic_stack 0
		.amdhsa_enable_private_segment 0
		.amdhsa_system_sgpr_workgroup_id_x 1
		.amdhsa_system_sgpr_workgroup_id_y 0
		.amdhsa_system_sgpr_workgroup_id_z 0
		.amdhsa_system_sgpr_workgroup_info 0
		.amdhsa_system_vgpr_workitem_id 0
		.amdhsa_next_free_vgpr 17
		.amdhsa_next_free_sgpr 5
		.amdhsa_reserve_vcc 1
		.amdhsa_float_round_mode_32 0
		.amdhsa_float_round_mode_16_64 0
		.amdhsa_float_denorm_mode_32 3
		.amdhsa_float_denorm_mode_16_64 3
		.amdhsa_fp16_overflow 0
		.amdhsa_workgroup_processor_mode 1
		.amdhsa_memory_ordered 1
		.amdhsa_forward_progress 1
		.amdhsa_inst_pref_size 3
		.amdhsa_round_robin_scheduling 0
		.amdhsa_exception_fp_ieee_invalid_op 0
		.amdhsa_exception_fp_denorm_src 0
		.amdhsa_exception_fp_ieee_div_zero 0
		.amdhsa_exception_fp_ieee_overflow 0
		.amdhsa_exception_fp_ieee_underflow 0
		.amdhsa_exception_fp_ieee_inexact 0
		.amdhsa_exception_int_div_zero 0
	.end_amdhsa_kernel
	.section	.text._Z16warp_load_kernelILj256ELj8ELj32ELN6hipcub17WarpLoadAlgorithmE2EiEvPT3_S3_,"axG",@progbits,_Z16warp_load_kernelILj256ELj8ELj32ELN6hipcub17WarpLoadAlgorithmE2EiEvPT3_S3_,comdat
.Lfunc_end6:
	.size	_Z16warp_load_kernelILj256ELj8ELj32ELN6hipcub17WarpLoadAlgorithmE2EiEvPT3_S3_, .Lfunc_end6-_Z16warp_load_kernelILj256ELj8ELj32ELN6hipcub17WarpLoadAlgorithmE2EiEvPT3_S3_
                                        ; -- End function
	.set _Z16warp_load_kernelILj256ELj8ELj32ELN6hipcub17WarpLoadAlgorithmE2EiEvPT3_S3_.num_vgpr, 17
	.set _Z16warp_load_kernelILj256ELj8ELj32ELN6hipcub17WarpLoadAlgorithmE2EiEvPT3_S3_.num_agpr, 0
	.set _Z16warp_load_kernelILj256ELj8ELj32ELN6hipcub17WarpLoadAlgorithmE2EiEvPT3_S3_.numbered_sgpr, 5
	.set _Z16warp_load_kernelILj256ELj8ELj32ELN6hipcub17WarpLoadAlgorithmE2EiEvPT3_S3_.num_named_barrier, 0
	.set _Z16warp_load_kernelILj256ELj8ELj32ELN6hipcub17WarpLoadAlgorithmE2EiEvPT3_S3_.private_seg_size, 0
	.set _Z16warp_load_kernelILj256ELj8ELj32ELN6hipcub17WarpLoadAlgorithmE2EiEvPT3_S3_.uses_vcc, 1
	.set _Z16warp_load_kernelILj256ELj8ELj32ELN6hipcub17WarpLoadAlgorithmE2EiEvPT3_S3_.uses_flat_scratch, 0
	.set _Z16warp_load_kernelILj256ELj8ELj32ELN6hipcub17WarpLoadAlgorithmE2EiEvPT3_S3_.has_dyn_sized_stack, 0
	.set _Z16warp_load_kernelILj256ELj8ELj32ELN6hipcub17WarpLoadAlgorithmE2EiEvPT3_S3_.has_recursion, 0
	.set _Z16warp_load_kernelILj256ELj8ELj32ELN6hipcub17WarpLoadAlgorithmE2EiEvPT3_S3_.has_indirect_call, 0
	.section	.AMDGPU.csdata,"",@progbits
; Kernel info:
; codeLenInByte = 380
; TotalNumSgprs: 7
; NumVgprs: 17
; ScratchSize: 0
; MemoryBound: 0
; FloatMode: 240
; IeeeMode: 1
; LDSByteSize: 0 bytes/workgroup (compile time only)
; SGPRBlocks: 0
; VGPRBlocks: 2
; NumSGPRsForWavesPerEU: 7
; NumVGPRsForWavesPerEU: 17
; Occupancy: 16
; WaveLimiterHint : 1
; COMPUTE_PGM_RSRC2:SCRATCH_EN: 0
; COMPUTE_PGM_RSRC2:USER_SGPR: 2
; COMPUTE_PGM_RSRC2:TRAP_HANDLER: 0
; COMPUTE_PGM_RSRC2:TGID_X_EN: 1
; COMPUTE_PGM_RSRC2:TGID_Y_EN: 0
; COMPUTE_PGM_RSRC2:TGID_Z_EN: 0
; COMPUTE_PGM_RSRC2:TIDIG_COMP_CNT: 0
	.section	.text._Z16warp_load_kernelILj256ELj8ELj32ELN6hipcub17WarpLoadAlgorithmE3EiEvPT3_S3_,"axG",@progbits,_Z16warp_load_kernelILj256ELj8ELj32ELN6hipcub17WarpLoadAlgorithmE3EiEvPT3_S3_,comdat
	.protected	_Z16warp_load_kernelILj256ELj8ELj32ELN6hipcub17WarpLoadAlgorithmE3EiEvPT3_S3_ ; -- Begin function _Z16warp_load_kernelILj256ELj8ELj32ELN6hipcub17WarpLoadAlgorithmE3EiEvPT3_S3_
	.globl	_Z16warp_load_kernelILj256ELj8ELj32ELN6hipcub17WarpLoadAlgorithmE3EiEvPT3_S3_
	.p2align	8
	.type	_Z16warp_load_kernelILj256ELj8ELj32ELN6hipcub17WarpLoadAlgorithmE3EiEvPT3_S3_,@function
_Z16warp_load_kernelILj256ELj8ELj32ELN6hipcub17WarpLoadAlgorithmE3EiEvPT3_S3_: ; @_Z16warp_load_kernelILj256ELj8ELj32ELN6hipcub17WarpLoadAlgorithmE3EiEvPT3_S3_
; %bb.0:
	s_load_b128 s[0:3], s[0:1], 0x0
	v_lshrrev_b32_e32 v3, 5, v0
	s_lshl_b32 s4, ttmp9, 11
	v_mbcnt_lo_u32_b32 v6, -1, 0
	v_mov_b32_e32 v5, 0
	s_delay_alu instid0(VALU_DEP_3) | instskip(SKIP_1) | instid1(VALU_DEP_3)
	v_lshl_or_b32 v4, v3, 8, s4
	v_lshlrev_b32_e32 v3, 10, v3
	v_dual_mov_b32 v7, v5 :: v_dual_lshlrev_b32 v8, 2, v6
	s_delay_alu instid0(VALU_DEP_3) | instskip(SKIP_1) | instid1(VALU_DEP_3)
	v_lshlrev_b64_e32 v[1:2], 2, v[4:5]
	v_or_b32_e32 v4, s4, v0
	v_or_b32_e32 v19, v3, v8
	v_lshl_or_b32 v20, v6, 5, v3
	s_delay_alu instid0(VALU_DEP_3) | instskip(SKIP_3) | instid1(VALU_DEP_1)
	v_or_b32_e32 v0, 0x500, v4
	v_or_b32_e32 v6, 0x600, v4
	s_wait_kmcnt 0x0
	v_add_co_u32 v1, vcc_lo, s0, v1
	v_add_co_ci_u32_e64 v2, null, s1, v2, vcc_lo
	s_delay_alu instid0(VALU_DEP_2) | instskip(SKIP_1) | instid1(VALU_DEP_2)
	v_add_co_u32 v1, vcc_lo, v1, v8
	s_wait_alu 0xfffd
	v_add_co_ci_u32_e64 v2, null, 0, v2, vcc_lo
	v_lshlrev_b64_e32 v[8:9], 2, v[4:5]
	v_or_b32_e32 v4, 0x700, v4
	s_clause 0x7
	global_load_b32 v12, v[1:2], off
	global_load_b32 v13, v[1:2], off offset:128
	global_load_b32 v14, v[1:2], off offset:256
	;; [unrolled: 1-line block ×7, first 2 shown]
	v_mov_b32_e32 v1, v5
	s_wait_loadcnt 0x6
	ds_store_2addr_b32 v19, v12, v13 offset1:32
	s_wait_loadcnt 0x4
	ds_store_2addr_b32 v19, v14, v15 offset0:64 offset1:96
	s_wait_loadcnt 0x2
	ds_store_2addr_b32 v19, v16, v17 offset0:128 offset1:160
	;; [unrolled: 2-line block ×3, first 2 shown]
	v_lshlrev_b64_e32 v[10:11], 2, v[0:1]
	; wave barrier
	ds_load_b128 v[0:3], v20
	v_lshlrev_b64_e32 v[12:13], 2, v[6:7]
	v_lshlrev_b64_e32 v[14:15], 2, v[4:5]
	ds_load_b128 v[4:7], v20 offset:16
	v_add_co_u32 v8, vcc_lo, s2, v8
	s_wait_alu 0xfffd
	v_add_co_ci_u32_e64 v9, null, s3, v9, vcc_lo
	v_add_co_u32 v10, vcc_lo, s2, v10
	s_wait_alu 0xfffd
	v_add_co_ci_u32_e64 v11, null, s3, v11, vcc_lo
	;; [unrolled: 3-line block ×4, first 2 shown]
	s_wait_dscnt 0x1
	s_clause 0x3
	global_store_b32 v[8:9], v0, off
	global_store_b32 v[8:9], v1, off offset:1024
	global_store_b32 v[8:9], v2, off offset:2048
	;; [unrolled: 1-line block ×3, first 2 shown]
	s_wait_dscnt 0x0
	s_clause 0x3
	global_store_b32 v[8:9], v4, off offset:4096
	global_store_b32 v[10:11], v5, off
	global_store_b32 v[12:13], v6, off
	;; [unrolled: 1-line block ×3, first 2 shown]
	s_endpgm
	.section	.rodata,"a",@progbits
	.p2align	6, 0x0
	.amdhsa_kernel _Z16warp_load_kernelILj256ELj8ELj32ELN6hipcub17WarpLoadAlgorithmE3EiEvPT3_S3_
		.amdhsa_group_segment_fixed_size 8192
		.amdhsa_private_segment_fixed_size 0
		.amdhsa_kernarg_size 16
		.amdhsa_user_sgpr_count 2
		.amdhsa_user_sgpr_dispatch_ptr 0
		.amdhsa_user_sgpr_queue_ptr 0
		.amdhsa_user_sgpr_kernarg_segment_ptr 1
		.amdhsa_user_sgpr_dispatch_id 0
		.amdhsa_user_sgpr_private_segment_size 0
		.amdhsa_wavefront_size32 1
		.amdhsa_uses_dynamic_stack 0
		.amdhsa_enable_private_segment 0
		.amdhsa_system_sgpr_workgroup_id_x 1
		.amdhsa_system_sgpr_workgroup_id_y 0
		.amdhsa_system_sgpr_workgroup_id_z 0
		.amdhsa_system_sgpr_workgroup_info 0
		.amdhsa_system_vgpr_workitem_id 0
		.amdhsa_next_free_vgpr 21
		.amdhsa_next_free_sgpr 5
		.amdhsa_reserve_vcc 1
		.amdhsa_float_round_mode_32 0
		.amdhsa_float_round_mode_16_64 0
		.amdhsa_float_denorm_mode_32 3
		.amdhsa_float_denorm_mode_16_64 3
		.amdhsa_fp16_overflow 0
		.amdhsa_workgroup_processor_mode 1
		.amdhsa_memory_ordered 1
		.amdhsa_forward_progress 1
		.amdhsa_inst_pref_size 5
		.amdhsa_round_robin_scheduling 0
		.amdhsa_exception_fp_ieee_invalid_op 0
		.amdhsa_exception_fp_denorm_src 0
		.amdhsa_exception_fp_ieee_div_zero 0
		.amdhsa_exception_fp_ieee_overflow 0
		.amdhsa_exception_fp_ieee_underflow 0
		.amdhsa_exception_fp_ieee_inexact 0
		.amdhsa_exception_int_div_zero 0
	.end_amdhsa_kernel
	.section	.text._Z16warp_load_kernelILj256ELj8ELj32ELN6hipcub17WarpLoadAlgorithmE3EiEvPT3_S3_,"axG",@progbits,_Z16warp_load_kernelILj256ELj8ELj32ELN6hipcub17WarpLoadAlgorithmE3EiEvPT3_S3_,comdat
.Lfunc_end7:
	.size	_Z16warp_load_kernelILj256ELj8ELj32ELN6hipcub17WarpLoadAlgorithmE3EiEvPT3_S3_, .Lfunc_end7-_Z16warp_load_kernelILj256ELj8ELj32ELN6hipcub17WarpLoadAlgorithmE3EiEvPT3_S3_
                                        ; -- End function
	.set _Z16warp_load_kernelILj256ELj8ELj32ELN6hipcub17WarpLoadAlgorithmE3EiEvPT3_S3_.num_vgpr, 21
	.set _Z16warp_load_kernelILj256ELj8ELj32ELN6hipcub17WarpLoadAlgorithmE3EiEvPT3_S3_.num_agpr, 0
	.set _Z16warp_load_kernelILj256ELj8ELj32ELN6hipcub17WarpLoadAlgorithmE3EiEvPT3_S3_.numbered_sgpr, 5
	.set _Z16warp_load_kernelILj256ELj8ELj32ELN6hipcub17WarpLoadAlgorithmE3EiEvPT3_S3_.num_named_barrier, 0
	.set _Z16warp_load_kernelILj256ELj8ELj32ELN6hipcub17WarpLoadAlgorithmE3EiEvPT3_S3_.private_seg_size, 0
	.set _Z16warp_load_kernelILj256ELj8ELj32ELN6hipcub17WarpLoadAlgorithmE3EiEvPT3_S3_.uses_vcc, 1
	.set _Z16warp_load_kernelILj256ELj8ELj32ELN6hipcub17WarpLoadAlgorithmE3EiEvPT3_S3_.uses_flat_scratch, 0
	.set _Z16warp_load_kernelILj256ELj8ELj32ELN6hipcub17WarpLoadAlgorithmE3EiEvPT3_S3_.has_dyn_sized_stack, 0
	.set _Z16warp_load_kernelILj256ELj8ELj32ELN6hipcub17WarpLoadAlgorithmE3EiEvPT3_S3_.has_recursion, 0
	.set _Z16warp_load_kernelILj256ELj8ELj32ELN6hipcub17WarpLoadAlgorithmE3EiEvPT3_S3_.has_indirect_call, 0
	.section	.AMDGPU.csdata,"",@progbits
; Kernel info:
; codeLenInByte = 528
; TotalNumSgprs: 7
; NumVgprs: 21
; ScratchSize: 0
; MemoryBound: 0
; FloatMode: 240
; IeeeMode: 1
; LDSByteSize: 8192 bytes/workgroup (compile time only)
; SGPRBlocks: 0
; VGPRBlocks: 2
; NumSGPRsForWavesPerEU: 7
; NumVGPRsForWavesPerEU: 21
; Occupancy: 16
; WaveLimiterHint : 1
; COMPUTE_PGM_RSRC2:SCRATCH_EN: 0
; COMPUTE_PGM_RSRC2:USER_SGPR: 2
; COMPUTE_PGM_RSRC2:TRAP_HANDLER: 0
; COMPUTE_PGM_RSRC2:TGID_X_EN: 1
; COMPUTE_PGM_RSRC2:TGID_Y_EN: 0
; COMPUTE_PGM_RSRC2:TGID_Z_EN: 0
; COMPUTE_PGM_RSRC2:TIDIG_COMP_CNT: 0
	.section	.text._Z16warp_load_kernelILj256ELj16ELj32ELN6hipcub17WarpLoadAlgorithmE0EiEvPT3_S3_,"axG",@progbits,_Z16warp_load_kernelILj256ELj16ELj32ELN6hipcub17WarpLoadAlgorithmE0EiEvPT3_S3_,comdat
	.protected	_Z16warp_load_kernelILj256ELj16ELj32ELN6hipcub17WarpLoadAlgorithmE0EiEvPT3_S3_ ; -- Begin function _Z16warp_load_kernelILj256ELj16ELj32ELN6hipcub17WarpLoadAlgorithmE0EiEvPT3_S3_
	.globl	_Z16warp_load_kernelILj256ELj16ELj32ELN6hipcub17WarpLoadAlgorithmE0EiEvPT3_S3_
	.p2align	8
	.type	_Z16warp_load_kernelILj256ELj16ELj32ELN6hipcub17WarpLoadAlgorithmE0EiEvPT3_S3_,@function
_Z16warp_load_kernelILj256ELj16ELj32ELN6hipcub17WarpLoadAlgorithmE0EiEvPT3_S3_: ; @_Z16warp_load_kernelILj256ELj16ELj32ELN6hipcub17WarpLoadAlgorithmE0EiEvPT3_S3_
; %bb.0:
	s_load_b128 s[0:3], s[0:1], 0x0
	v_dual_mov_b32 v18, 0 :: v_dual_lshlrev_b32 v1, 4, v0
	s_lshl_b32 s4, ttmp9, 12
	v_mbcnt_lo_u32_b32 v3, -1, 0
	s_delay_alu instid0(VALU_DEP_2) | instskip(NEXT) | instid1(VALU_DEP_3)
	v_and_or_b32 v17, 0xe00, v1, s4
	v_mov_b32_e32 v20, v18
	s_delay_alu instid0(VALU_DEP_3) | instskip(NEXT) | instid1(VALU_DEP_3)
	v_dual_mov_b32 v22, v18 :: v_dual_lshlrev_b32 v3, 6, v3
	v_lshlrev_b64_e32 v[1:2], 2, v[17:18]
	v_or_b32_e32 v17, s4, v0
	s_delay_alu instid0(VALU_DEP_1) | instskip(SKIP_4) | instid1(VALU_DEP_1)
	v_or_b32_e32 v19, 0xd00, v17
	v_or_b32_e32 v21, 0xe00, v17
	v_lshlrev_b64_e32 v[23:24], 2, v[17:18]
	s_wait_kmcnt 0x0
	v_add_co_u32 v1, vcc_lo, s0, v1
	v_add_co_ci_u32_e64 v2, null, s1, v2, vcc_lo
	v_or_b32_e32 v17, 0xf00, v17
	s_delay_alu instid0(VALU_DEP_3) | instskip(SKIP_1) | instid1(VALU_DEP_3)
	v_add_co_u32 v13, vcc_lo, v1, v3
	s_wait_alu 0xfffd
	v_add_co_ci_u32_e64 v14, null, 0, v2, vcc_lo
	v_lshlrev_b64_e32 v[19:20], 2, v[19:20]
	v_lshlrev_b64_e32 v[21:22], 2, v[21:22]
	;; [unrolled: 1-line block ×3, first 2 shown]
	s_clause 0x3
	global_load_b128 v[1:4], v[13:14], off
	global_load_b128 v[5:8], v[13:14], off offset:16
	global_load_b128 v[9:12], v[13:14], off offset:32
	;; [unrolled: 1-line block ×3, first 2 shown]
	v_add_co_u32 v23, vcc_lo, s2, v23
	s_wait_alu 0xfffd
	v_add_co_ci_u32_e64 v24, null, s3, v24, vcc_lo
	v_add_co_u32 v19, vcc_lo, s2, v19
	s_wait_alu 0xfffd
	v_add_co_ci_u32_e64 v20, null, s3, v20, vcc_lo
	v_add_co_u32 v21, vcc_lo, s2, v21
	s_wait_alu 0xfffd
	v_add_co_ci_u32_e64 v22, null, s3, v22, vcc_lo
	v_add_co_u32 v17, vcc_lo, s2, v17
	s_wait_alu 0xfffd
	v_add_co_ci_u32_e64 v18, null, s3, v18, vcc_lo
	s_wait_loadcnt 0x3
	s_clause 0x3
	global_store_b32 v[23:24], v1, off
	global_store_b32 v[23:24], v2, off offset:1024
	global_store_b32 v[23:24], v3, off offset:2048
	global_store_b32 v[23:24], v4, off offset:3072
	s_wait_loadcnt 0x2
	s_clause 0x3
	global_store_b32 v[23:24], v5, off offset:4096
	global_store_b32 v[23:24], v6, off offset:5120
	global_store_b32 v[23:24], v7, off offset:6144
	global_store_b32 v[23:24], v8, off offset:7168
	s_wait_loadcnt 0x1
	s_clause 0x3
	global_store_b32 v[23:24], v9, off offset:8192
	;; [unrolled: 6-line block ×3, first 2 shown]
	global_store_b32 v[19:20], v14, off
	global_store_b32 v[21:22], v15, off
	;; [unrolled: 1-line block ×3, first 2 shown]
	s_endpgm
	.section	.rodata,"a",@progbits
	.p2align	6, 0x0
	.amdhsa_kernel _Z16warp_load_kernelILj256ELj16ELj32ELN6hipcub17WarpLoadAlgorithmE0EiEvPT3_S3_
		.amdhsa_group_segment_fixed_size 0
		.amdhsa_private_segment_fixed_size 0
		.amdhsa_kernarg_size 16
		.amdhsa_user_sgpr_count 2
		.amdhsa_user_sgpr_dispatch_ptr 0
		.amdhsa_user_sgpr_queue_ptr 0
		.amdhsa_user_sgpr_kernarg_segment_ptr 1
		.amdhsa_user_sgpr_dispatch_id 0
		.amdhsa_user_sgpr_private_segment_size 0
		.amdhsa_wavefront_size32 1
		.amdhsa_uses_dynamic_stack 0
		.amdhsa_enable_private_segment 0
		.amdhsa_system_sgpr_workgroup_id_x 1
		.amdhsa_system_sgpr_workgroup_id_y 0
		.amdhsa_system_sgpr_workgroup_id_z 0
		.amdhsa_system_sgpr_workgroup_info 0
		.amdhsa_system_vgpr_workitem_id 0
		.amdhsa_next_free_vgpr 25
		.amdhsa_next_free_sgpr 5
		.amdhsa_reserve_vcc 1
		.amdhsa_float_round_mode_32 0
		.amdhsa_float_round_mode_16_64 0
		.amdhsa_float_denorm_mode_32 3
		.amdhsa_float_denorm_mode_16_64 3
		.amdhsa_fp16_overflow 0
		.amdhsa_workgroup_processor_mode 1
		.amdhsa_memory_ordered 1
		.amdhsa_forward_progress 1
		.amdhsa_inst_pref_size 5
		.amdhsa_round_robin_scheduling 0
		.amdhsa_exception_fp_ieee_invalid_op 0
		.amdhsa_exception_fp_denorm_src 0
		.amdhsa_exception_fp_ieee_div_zero 0
		.amdhsa_exception_fp_ieee_overflow 0
		.amdhsa_exception_fp_ieee_underflow 0
		.amdhsa_exception_fp_ieee_inexact 0
		.amdhsa_exception_int_div_zero 0
	.end_amdhsa_kernel
	.section	.text._Z16warp_load_kernelILj256ELj16ELj32ELN6hipcub17WarpLoadAlgorithmE0EiEvPT3_S3_,"axG",@progbits,_Z16warp_load_kernelILj256ELj16ELj32ELN6hipcub17WarpLoadAlgorithmE0EiEvPT3_S3_,comdat
.Lfunc_end8:
	.size	_Z16warp_load_kernelILj256ELj16ELj32ELN6hipcub17WarpLoadAlgorithmE0EiEvPT3_S3_, .Lfunc_end8-_Z16warp_load_kernelILj256ELj16ELj32ELN6hipcub17WarpLoadAlgorithmE0EiEvPT3_S3_
                                        ; -- End function
	.set _Z16warp_load_kernelILj256ELj16ELj32ELN6hipcub17WarpLoadAlgorithmE0EiEvPT3_S3_.num_vgpr, 25
	.set _Z16warp_load_kernelILj256ELj16ELj32ELN6hipcub17WarpLoadAlgorithmE0EiEvPT3_S3_.num_agpr, 0
	.set _Z16warp_load_kernelILj256ELj16ELj32ELN6hipcub17WarpLoadAlgorithmE0EiEvPT3_S3_.numbered_sgpr, 5
	.set _Z16warp_load_kernelILj256ELj16ELj32ELN6hipcub17WarpLoadAlgorithmE0EiEvPT3_S3_.num_named_barrier, 0
	.set _Z16warp_load_kernelILj256ELj16ELj32ELN6hipcub17WarpLoadAlgorithmE0EiEvPT3_S3_.private_seg_size, 0
	.set _Z16warp_load_kernelILj256ELj16ELj32ELN6hipcub17WarpLoadAlgorithmE0EiEvPT3_S3_.uses_vcc, 1
	.set _Z16warp_load_kernelILj256ELj16ELj32ELN6hipcub17WarpLoadAlgorithmE0EiEvPT3_S3_.uses_flat_scratch, 0
	.set _Z16warp_load_kernelILj256ELj16ELj32ELN6hipcub17WarpLoadAlgorithmE0EiEvPT3_S3_.has_dyn_sized_stack, 0
	.set _Z16warp_load_kernelILj256ELj16ELj32ELN6hipcub17WarpLoadAlgorithmE0EiEvPT3_S3_.has_recursion, 0
	.set _Z16warp_load_kernelILj256ELj16ELj32ELN6hipcub17WarpLoadAlgorithmE0EiEvPT3_S3_.has_indirect_call, 0
	.section	.AMDGPU.csdata,"",@progbits
; Kernel info:
; codeLenInByte = 516
; TotalNumSgprs: 7
; NumVgprs: 25
; ScratchSize: 0
; MemoryBound: 0
; FloatMode: 240
; IeeeMode: 1
; LDSByteSize: 0 bytes/workgroup (compile time only)
; SGPRBlocks: 0
; VGPRBlocks: 3
; NumSGPRsForWavesPerEU: 7
; NumVGPRsForWavesPerEU: 25
; Occupancy: 16
; WaveLimiterHint : 1
; COMPUTE_PGM_RSRC2:SCRATCH_EN: 0
; COMPUTE_PGM_RSRC2:USER_SGPR: 2
; COMPUTE_PGM_RSRC2:TRAP_HANDLER: 0
; COMPUTE_PGM_RSRC2:TGID_X_EN: 1
; COMPUTE_PGM_RSRC2:TGID_Y_EN: 0
; COMPUTE_PGM_RSRC2:TGID_Z_EN: 0
; COMPUTE_PGM_RSRC2:TIDIG_COMP_CNT: 0
	.section	.text._Z16warp_load_kernelILj256ELj16ELj32ELN6hipcub17WarpLoadAlgorithmE1EiEvPT3_S3_,"axG",@progbits,_Z16warp_load_kernelILj256ELj16ELj32ELN6hipcub17WarpLoadAlgorithmE1EiEvPT3_S3_,comdat
	.protected	_Z16warp_load_kernelILj256ELj16ELj32ELN6hipcub17WarpLoadAlgorithmE1EiEvPT3_S3_ ; -- Begin function _Z16warp_load_kernelILj256ELj16ELj32ELN6hipcub17WarpLoadAlgorithmE1EiEvPT3_S3_
	.globl	_Z16warp_load_kernelILj256ELj16ELj32ELN6hipcub17WarpLoadAlgorithmE1EiEvPT3_S3_
	.p2align	8
	.type	_Z16warp_load_kernelILj256ELj16ELj32ELN6hipcub17WarpLoadAlgorithmE1EiEvPT3_S3_,@function
_Z16warp_load_kernelILj256ELj16ELj32ELN6hipcub17WarpLoadAlgorithmE1EiEvPT3_S3_: ; @_Z16warp_load_kernelILj256ELj16ELj32ELN6hipcub17WarpLoadAlgorithmE1EiEvPT3_S3_
; %bb.0:
	s_load_b128 s[0:3], s[0:1], 0x0
	v_dual_mov_b32 v2, 0 :: v_dual_lshlrev_b32 v1, 4, v0
	s_lshl_b32 s4, ttmp9, 12
	v_mbcnt_lo_u32_b32 v5, -1, 0
	s_delay_alu instid0(VALU_DEP_2) | instskip(NEXT) | instid1(VALU_DEP_3)
	v_and_or_b32 v1, 0xe00, v1, s4
	v_mov_b32_e32 v6, v2
	s_delay_alu instid0(VALU_DEP_2) | instskip(NEXT) | instid1(VALU_DEP_4)
	v_lshlrev_b64_e32 v[3:4], 2, v[1:2]
	v_lshlrev_b32_e32 v1, 2, v5
	s_wait_kmcnt 0x0
	s_delay_alu instid0(VALU_DEP_2) | instskip(NEXT) | instid1(VALU_DEP_1)
	v_add_co_u32 v3, vcc_lo, s0, v3
	v_add_co_ci_u32_e64 v4, null, s1, v4, vcc_lo
	s_delay_alu instid0(VALU_DEP_2) | instskip(SKIP_1) | instid1(VALU_DEP_2)
	v_add_co_u32 v3, vcc_lo, v3, v1
	s_wait_alu 0xfffd
	v_add_co_ci_u32_e64 v4, null, 0, v4, vcc_lo
	v_or_b32_e32 v1, s4, v0
	s_clause 0xf
	global_load_b32 v9, v[3:4], off
	global_load_b32 v10, v[3:4], off offset:128
	global_load_b32 v11, v[3:4], off offset:256
	;; [unrolled: 1-line block ×15, first 2 shown]
	v_mov_b32_e32 v4, v2
	v_or_b32_e32 v3, 0xd00, v1
	v_or_b32_e32 v5, 0xe00, v1
	v_lshlrev_b64_e32 v[7:8], 2, v[1:2]
	v_or_b32_e32 v1, 0xf00, v1
	s_delay_alu instid0(VALU_DEP_4) | instskip(NEXT) | instid1(VALU_DEP_4)
	v_lshlrev_b64_e32 v[3:4], 2, v[3:4]
	v_lshlrev_b64_e32 v[5:6], 2, v[5:6]
	s_delay_alu instid0(VALU_DEP_3)
	v_lshlrev_b64_e32 v[0:1], 2, v[1:2]
	v_add_co_u32 v7, vcc_lo, s2, v7
	s_wait_alu 0xfffd
	v_add_co_ci_u32_e64 v8, null, s3, v8, vcc_lo
	v_add_co_u32 v2, vcc_lo, s2, v3
	s_wait_alu 0xfffd
	v_add_co_ci_u32_e64 v3, null, s3, v4, vcc_lo
	;; [unrolled: 3-line block ×4, first 2 shown]
	s_wait_loadcnt 0xf
	global_store_b32 v[7:8], v9, off
	s_wait_loadcnt 0xe
	global_store_b32 v[7:8], v10, off offset:1024
	s_wait_loadcnt 0xd
	global_store_b32 v[7:8], v11, off offset:2048
	;; [unrolled: 2-line block ×12, first 2 shown]
	s_wait_loadcnt 0x2
	global_store_b32 v[2:3], v22, off
	s_wait_loadcnt 0x1
	global_store_b32 v[4:5], v23, off
	;; [unrolled: 2-line block ×3, first 2 shown]
	s_endpgm
	.section	.rodata,"a",@progbits
	.p2align	6, 0x0
	.amdhsa_kernel _Z16warp_load_kernelILj256ELj16ELj32ELN6hipcub17WarpLoadAlgorithmE1EiEvPT3_S3_
		.amdhsa_group_segment_fixed_size 0
		.amdhsa_private_segment_fixed_size 0
		.amdhsa_kernarg_size 16
		.amdhsa_user_sgpr_count 2
		.amdhsa_user_sgpr_dispatch_ptr 0
		.amdhsa_user_sgpr_queue_ptr 0
		.amdhsa_user_sgpr_kernarg_segment_ptr 1
		.amdhsa_user_sgpr_dispatch_id 0
		.amdhsa_user_sgpr_private_segment_size 0
		.amdhsa_wavefront_size32 1
		.amdhsa_uses_dynamic_stack 0
		.amdhsa_enable_private_segment 0
		.amdhsa_system_sgpr_workgroup_id_x 1
		.amdhsa_system_sgpr_workgroup_id_y 0
		.amdhsa_system_sgpr_workgroup_id_z 0
		.amdhsa_system_sgpr_workgroup_info 0
		.amdhsa_system_vgpr_workitem_id 0
		.amdhsa_next_free_vgpr 25
		.amdhsa_next_free_sgpr 5
		.amdhsa_reserve_vcc 1
		.amdhsa_float_round_mode_32 0
		.amdhsa_float_round_mode_16_64 0
		.amdhsa_float_denorm_mode_32 3
		.amdhsa_float_denorm_mode_16_64 3
		.amdhsa_fp16_overflow 0
		.amdhsa_workgroup_processor_mode 1
		.amdhsa_memory_ordered 1
		.amdhsa_forward_progress 1
		.amdhsa_inst_pref_size 6
		.amdhsa_round_robin_scheduling 0
		.amdhsa_exception_fp_ieee_invalid_op 0
		.amdhsa_exception_fp_denorm_src 0
		.amdhsa_exception_fp_ieee_div_zero 0
		.amdhsa_exception_fp_ieee_overflow 0
		.amdhsa_exception_fp_ieee_underflow 0
		.amdhsa_exception_fp_ieee_inexact 0
		.amdhsa_exception_int_div_zero 0
	.end_amdhsa_kernel
	.section	.text._Z16warp_load_kernelILj256ELj16ELj32ELN6hipcub17WarpLoadAlgorithmE1EiEvPT3_S3_,"axG",@progbits,_Z16warp_load_kernelILj256ELj16ELj32ELN6hipcub17WarpLoadAlgorithmE1EiEvPT3_S3_,comdat
.Lfunc_end9:
	.size	_Z16warp_load_kernelILj256ELj16ELj32ELN6hipcub17WarpLoadAlgorithmE1EiEvPT3_S3_, .Lfunc_end9-_Z16warp_load_kernelILj256ELj16ELj32ELN6hipcub17WarpLoadAlgorithmE1EiEvPT3_S3_
                                        ; -- End function
	.set _Z16warp_load_kernelILj256ELj16ELj32ELN6hipcub17WarpLoadAlgorithmE1EiEvPT3_S3_.num_vgpr, 25
	.set _Z16warp_load_kernelILj256ELj16ELj32ELN6hipcub17WarpLoadAlgorithmE1EiEvPT3_S3_.num_agpr, 0
	.set _Z16warp_load_kernelILj256ELj16ELj32ELN6hipcub17WarpLoadAlgorithmE1EiEvPT3_S3_.numbered_sgpr, 5
	.set _Z16warp_load_kernelILj256ELj16ELj32ELN6hipcub17WarpLoadAlgorithmE1EiEvPT3_S3_.num_named_barrier, 0
	.set _Z16warp_load_kernelILj256ELj16ELj32ELN6hipcub17WarpLoadAlgorithmE1EiEvPT3_S3_.private_seg_size, 0
	.set _Z16warp_load_kernelILj256ELj16ELj32ELN6hipcub17WarpLoadAlgorithmE1EiEvPT3_S3_.uses_vcc, 1
	.set _Z16warp_load_kernelILj256ELj16ELj32ELN6hipcub17WarpLoadAlgorithmE1EiEvPT3_S3_.uses_flat_scratch, 0
	.set _Z16warp_load_kernelILj256ELj16ELj32ELN6hipcub17WarpLoadAlgorithmE1EiEvPT3_S3_.has_dyn_sized_stack, 0
	.set _Z16warp_load_kernelILj256ELj16ELj32ELN6hipcub17WarpLoadAlgorithmE1EiEvPT3_S3_.has_recursion, 0
	.set _Z16warp_load_kernelILj256ELj16ELj32ELN6hipcub17WarpLoadAlgorithmE1EiEvPT3_S3_.has_indirect_call, 0
	.section	.AMDGPU.csdata,"",@progbits
; Kernel info:
; codeLenInByte = 700
; TotalNumSgprs: 7
; NumVgprs: 25
; ScratchSize: 0
; MemoryBound: 1
; FloatMode: 240
; IeeeMode: 1
; LDSByteSize: 0 bytes/workgroup (compile time only)
; SGPRBlocks: 0
; VGPRBlocks: 3
; NumSGPRsForWavesPerEU: 7
; NumVGPRsForWavesPerEU: 25
; Occupancy: 16
; WaveLimiterHint : 1
; COMPUTE_PGM_RSRC2:SCRATCH_EN: 0
; COMPUTE_PGM_RSRC2:USER_SGPR: 2
; COMPUTE_PGM_RSRC2:TRAP_HANDLER: 0
; COMPUTE_PGM_RSRC2:TGID_X_EN: 1
; COMPUTE_PGM_RSRC2:TGID_Y_EN: 0
; COMPUTE_PGM_RSRC2:TGID_Z_EN: 0
; COMPUTE_PGM_RSRC2:TIDIG_COMP_CNT: 0
	.section	.text._Z16warp_load_kernelILj256ELj16ELj32ELN6hipcub17WarpLoadAlgorithmE2EiEvPT3_S3_,"axG",@progbits,_Z16warp_load_kernelILj256ELj16ELj32ELN6hipcub17WarpLoadAlgorithmE2EiEvPT3_S3_,comdat
	.protected	_Z16warp_load_kernelILj256ELj16ELj32ELN6hipcub17WarpLoadAlgorithmE2EiEvPT3_S3_ ; -- Begin function _Z16warp_load_kernelILj256ELj16ELj32ELN6hipcub17WarpLoadAlgorithmE2EiEvPT3_S3_
	.globl	_Z16warp_load_kernelILj256ELj16ELj32ELN6hipcub17WarpLoadAlgorithmE2EiEvPT3_S3_
	.p2align	8
	.type	_Z16warp_load_kernelILj256ELj16ELj32ELN6hipcub17WarpLoadAlgorithmE2EiEvPT3_S3_,@function
_Z16warp_load_kernelILj256ELj16ELj32ELN6hipcub17WarpLoadAlgorithmE2EiEvPT3_S3_: ; @_Z16warp_load_kernelILj256ELj16ELj32ELN6hipcub17WarpLoadAlgorithmE2EiEvPT3_S3_
; %bb.0:
	s_load_b128 s[0:3], s[0:1], 0x0
	v_dual_mov_b32 v18, 0 :: v_dual_lshlrev_b32 v1, 4, v0
	s_lshl_b32 s4, ttmp9, 12
	v_mbcnt_lo_u32_b32 v3, -1, 0
	s_delay_alu instid0(VALU_DEP_2) | instskip(NEXT) | instid1(VALU_DEP_3)
	v_and_or_b32 v17, 0xe00, v1, s4
	v_mov_b32_e32 v20, v18
	s_delay_alu instid0(VALU_DEP_3) | instskip(NEXT) | instid1(VALU_DEP_3)
	v_dual_mov_b32 v22, v18 :: v_dual_lshlrev_b32 v3, 6, v3
	v_lshlrev_b64_e32 v[1:2], 2, v[17:18]
	v_or_b32_e32 v17, s4, v0
	s_delay_alu instid0(VALU_DEP_1) | instskip(SKIP_4) | instid1(VALU_DEP_1)
	v_or_b32_e32 v19, 0xd00, v17
	v_or_b32_e32 v21, 0xe00, v17
	v_lshlrev_b64_e32 v[23:24], 2, v[17:18]
	s_wait_kmcnt 0x0
	v_add_co_u32 v1, vcc_lo, s0, v1
	v_add_co_ci_u32_e64 v2, null, s1, v2, vcc_lo
	v_or_b32_e32 v17, 0xf00, v17
	s_delay_alu instid0(VALU_DEP_3) | instskip(SKIP_1) | instid1(VALU_DEP_3)
	v_add_co_u32 v13, vcc_lo, v1, v3
	s_wait_alu 0xfffd
	v_add_co_ci_u32_e64 v14, null, 0, v2, vcc_lo
	v_lshlrev_b64_e32 v[19:20], 2, v[19:20]
	v_lshlrev_b64_e32 v[21:22], 2, v[21:22]
	;; [unrolled: 1-line block ×3, first 2 shown]
	s_clause 0x3
	global_load_b128 v[1:4], v[13:14], off
	global_load_b128 v[5:8], v[13:14], off offset:16
	global_load_b128 v[9:12], v[13:14], off offset:32
	;; [unrolled: 1-line block ×3, first 2 shown]
	v_add_co_u32 v23, vcc_lo, s2, v23
	s_wait_alu 0xfffd
	v_add_co_ci_u32_e64 v24, null, s3, v24, vcc_lo
	v_add_co_u32 v19, vcc_lo, s2, v19
	s_wait_alu 0xfffd
	v_add_co_ci_u32_e64 v20, null, s3, v20, vcc_lo
	;; [unrolled: 3-line block ×4, first 2 shown]
	s_wait_loadcnt 0x3
	s_clause 0x3
	global_store_b32 v[23:24], v1, off
	global_store_b32 v[23:24], v2, off offset:1024
	global_store_b32 v[23:24], v3, off offset:2048
	global_store_b32 v[23:24], v4, off offset:3072
	s_wait_loadcnt 0x2
	s_clause 0x3
	global_store_b32 v[23:24], v5, off offset:4096
	global_store_b32 v[23:24], v6, off offset:5120
	global_store_b32 v[23:24], v7, off offset:6144
	global_store_b32 v[23:24], v8, off offset:7168
	s_wait_loadcnt 0x1
	s_clause 0x3
	global_store_b32 v[23:24], v9, off offset:8192
	global_store_b32 v[23:24], v10, off offset:9216
	global_store_b32 v[23:24], v11, off offset:10240
	global_store_b32 v[23:24], v12, off offset:11264
	s_wait_loadcnt 0x0
	s_clause 0x3
	global_store_b32 v[23:24], v13, off offset:12288
	global_store_b32 v[19:20], v14, off
	global_store_b32 v[21:22], v15, off
	;; [unrolled: 1-line block ×3, first 2 shown]
	s_endpgm
	.section	.rodata,"a",@progbits
	.p2align	6, 0x0
	.amdhsa_kernel _Z16warp_load_kernelILj256ELj16ELj32ELN6hipcub17WarpLoadAlgorithmE2EiEvPT3_S3_
		.amdhsa_group_segment_fixed_size 0
		.amdhsa_private_segment_fixed_size 0
		.amdhsa_kernarg_size 16
		.amdhsa_user_sgpr_count 2
		.amdhsa_user_sgpr_dispatch_ptr 0
		.amdhsa_user_sgpr_queue_ptr 0
		.amdhsa_user_sgpr_kernarg_segment_ptr 1
		.amdhsa_user_sgpr_dispatch_id 0
		.amdhsa_user_sgpr_private_segment_size 0
		.amdhsa_wavefront_size32 1
		.amdhsa_uses_dynamic_stack 0
		.amdhsa_enable_private_segment 0
		.amdhsa_system_sgpr_workgroup_id_x 1
		.amdhsa_system_sgpr_workgroup_id_y 0
		.amdhsa_system_sgpr_workgroup_id_z 0
		.amdhsa_system_sgpr_workgroup_info 0
		.amdhsa_system_vgpr_workitem_id 0
		.amdhsa_next_free_vgpr 25
		.amdhsa_next_free_sgpr 5
		.amdhsa_reserve_vcc 1
		.amdhsa_float_round_mode_32 0
		.amdhsa_float_round_mode_16_64 0
		.amdhsa_float_denorm_mode_32 3
		.amdhsa_float_denorm_mode_16_64 3
		.amdhsa_fp16_overflow 0
		.amdhsa_workgroup_processor_mode 1
		.amdhsa_memory_ordered 1
		.amdhsa_forward_progress 1
		.amdhsa_inst_pref_size 5
		.amdhsa_round_robin_scheduling 0
		.amdhsa_exception_fp_ieee_invalid_op 0
		.amdhsa_exception_fp_denorm_src 0
		.amdhsa_exception_fp_ieee_div_zero 0
		.amdhsa_exception_fp_ieee_overflow 0
		.amdhsa_exception_fp_ieee_underflow 0
		.amdhsa_exception_fp_ieee_inexact 0
		.amdhsa_exception_int_div_zero 0
	.end_amdhsa_kernel
	.section	.text._Z16warp_load_kernelILj256ELj16ELj32ELN6hipcub17WarpLoadAlgorithmE2EiEvPT3_S3_,"axG",@progbits,_Z16warp_load_kernelILj256ELj16ELj32ELN6hipcub17WarpLoadAlgorithmE2EiEvPT3_S3_,comdat
.Lfunc_end10:
	.size	_Z16warp_load_kernelILj256ELj16ELj32ELN6hipcub17WarpLoadAlgorithmE2EiEvPT3_S3_, .Lfunc_end10-_Z16warp_load_kernelILj256ELj16ELj32ELN6hipcub17WarpLoadAlgorithmE2EiEvPT3_S3_
                                        ; -- End function
	.set _Z16warp_load_kernelILj256ELj16ELj32ELN6hipcub17WarpLoadAlgorithmE2EiEvPT3_S3_.num_vgpr, 25
	.set _Z16warp_load_kernelILj256ELj16ELj32ELN6hipcub17WarpLoadAlgorithmE2EiEvPT3_S3_.num_agpr, 0
	.set _Z16warp_load_kernelILj256ELj16ELj32ELN6hipcub17WarpLoadAlgorithmE2EiEvPT3_S3_.numbered_sgpr, 5
	.set _Z16warp_load_kernelILj256ELj16ELj32ELN6hipcub17WarpLoadAlgorithmE2EiEvPT3_S3_.num_named_barrier, 0
	.set _Z16warp_load_kernelILj256ELj16ELj32ELN6hipcub17WarpLoadAlgorithmE2EiEvPT3_S3_.private_seg_size, 0
	.set _Z16warp_load_kernelILj256ELj16ELj32ELN6hipcub17WarpLoadAlgorithmE2EiEvPT3_S3_.uses_vcc, 1
	.set _Z16warp_load_kernelILj256ELj16ELj32ELN6hipcub17WarpLoadAlgorithmE2EiEvPT3_S3_.uses_flat_scratch, 0
	.set _Z16warp_load_kernelILj256ELj16ELj32ELN6hipcub17WarpLoadAlgorithmE2EiEvPT3_S3_.has_dyn_sized_stack, 0
	.set _Z16warp_load_kernelILj256ELj16ELj32ELN6hipcub17WarpLoadAlgorithmE2EiEvPT3_S3_.has_recursion, 0
	.set _Z16warp_load_kernelILj256ELj16ELj32ELN6hipcub17WarpLoadAlgorithmE2EiEvPT3_S3_.has_indirect_call, 0
	.section	.AMDGPU.csdata,"",@progbits
; Kernel info:
; codeLenInByte = 516
; TotalNumSgprs: 7
; NumVgprs: 25
; ScratchSize: 0
; MemoryBound: 0
; FloatMode: 240
; IeeeMode: 1
; LDSByteSize: 0 bytes/workgroup (compile time only)
; SGPRBlocks: 0
; VGPRBlocks: 3
; NumSGPRsForWavesPerEU: 7
; NumVGPRsForWavesPerEU: 25
; Occupancy: 16
; WaveLimiterHint : 1
; COMPUTE_PGM_RSRC2:SCRATCH_EN: 0
; COMPUTE_PGM_RSRC2:USER_SGPR: 2
; COMPUTE_PGM_RSRC2:TRAP_HANDLER: 0
; COMPUTE_PGM_RSRC2:TGID_X_EN: 1
; COMPUTE_PGM_RSRC2:TGID_Y_EN: 0
; COMPUTE_PGM_RSRC2:TGID_Z_EN: 0
; COMPUTE_PGM_RSRC2:TIDIG_COMP_CNT: 0
	.section	.text._Z16warp_load_kernelILj256ELj16ELj32ELN6hipcub17WarpLoadAlgorithmE3EiEvPT3_S3_,"axG",@progbits,_Z16warp_load_kernelILj256ELj16ELj32ELN6hipcub17WarpLoadAlgorithmE3EiEvPT3_S3_,comdat
	.protected	_Z16warp_load_kernelILj256ELj16ELj32ELN6hipcub17WarpLoadAlgorithmE3EiEvPT3_S3_ ; -- Begin function _Z16warp_load_kernelILj256ELj16ELj32ELN6hipcub17WarpLoadAlgorithmE3EiEvPT3_S3_
	.globl	_Z16warp_load_kernelILj256ELj16ELj32ELN6hipcub17WarpLoadAlgorithmE3EiEvPT3_S3_
	.p2align	8
	.type	_Z16warp_load_kernelILj256ELj16ELj32ELN6hipcub17WarpLoadAlgorithmE3EiEvPT3_S3_,@function
_Z16warp_load_kernelILj256ELj16ELj32ELN6hipcub17WarpLoadAlgorithmE3EiEvPT3_S3_: ; @_Z16warp_load_kernelILj256ELj16ELj32ELN6hipcub17WarpLoadAlgorithmE3EiEvPT3_S3_
; %bb.0:
	s_load_b128 s[0:3], s[0:1], 0x0
	v_lshrrev_b32_e32 v5, 5, v0
	s_lshl_b32 s4, ttmp9, 12
	v_mov_b32_e32 v2, 0
	v_mbcnt_lo_u32_b32 v7, -1, 0
	s_delay_alu instid0(VALU_DEP_3) | instskip(SKIP_1) | instid1(VALU_DEP_3)
	v_lshl_or_b32 v1, v5, 9, s4
	v_lshlrev_b32_e32 v12, 11, v5
	v_lshlrev_b32_e32 v8, 2, v7
	s_delay_alu instid0(VALU_DEP_3) | instskip(NEXT) | instid1(VALU_DEP_3)
	v_lshlrev_b64_e32 v[3:4], 2, v[1:2]
	v_lshl_or_b32 v32, v7, 6, v12
	s_wait_kmcnt 0x0
	s_delay_alu instid0(VALU_DEP_2) | instskip(NEXT) | instid1(VALU_DEP_1)
	v_add_co_u32 v1, vcc_lo, s0, v3
	v_add_co_ci_u32_e64 v4, null, s1, v4, vcc_lo
	s_delay_alu instid0(VALU_DEP_2) | instskip(SKIP_1) | instid1(VALU_DEP_2)
	v_add_co_u32 v3, vcc_lo, v1, v8
	s_wait_alu 0xfffd
	v_add_co_ci_u32_e64 v4, null, 0, v4, vcc_lo
	v_or_b32_e32 v1, s4, v0
	v_or_b32_e32 v0, v12, v8
	s_clause 0xf
	global_load_b32 v10, v[3:4], off
	global_load_b32 v11, v[3:4], off offset:128
	global_load_b32 v14, v[3:4], off offset:256
	;; [unrolled: 1-line block ×15, first 2 shown]
	v_or_b32_e32 v3, 0xd00, v1
	v_or_b32_e32 v5, 0xe00, v1
	v_dual_mov_b32 v4, v2 :: v_dual_add_nc_u32 v7, 0x400, v0
	v_mov_b32_e32 v6, v2
	v_lshlrev_b64_e32 v[8:9], 2, v[1:2]
	v_or_b32_e32 v1, 0xf00, v1
	s_wait_loadcnt 0xe
	ds_store_2addr_b32 v0, v10, v11 offset1:32
	s_wait_loadcnt 0xc
	ds_store_2addr_b32 v0, v14, v15 offset0:64 offset1:96
	s_wait_loadcnt 0xa
	ds_store_2addr_b32 v0, v20, v21 offset0:128 offset1:160
	;; [unrolled: 2-line block ×3, first 2 shown]
	s_wait_loadcnt 0x6
	ds_store_2addr_b32 v7, v24, v25 offset1:32
	s_wait_loadcnt 0x4
	ds_store_2addr_b32 v7, v26, v27 offset0:64 offset1:96
	s_wait_loadcnt 0x2
	ds_store_2addr_b32 v7, v28, v29 offset0:128 offset1:160
	;; [unrolled: 2-line block ×3, first 2 shown]
	v_lshlrev_b64_e32 v[12:13], 2, v[3:4]
	v_lshlrev_b64_e32 v[16:17], 2, v[5:6]
	;; [unrolled: 1-line block ×3, first 2 shown]
	; wave barrier
	ds_load_b128 v[0:3], v32
	ds_load_b128 v[4:7], v32 offset:16
	v_add_co_u32 v20, vcc_lo, s2, v8
	s_wait_alu 0xfffd
	v_add_co_ci_u32_e64 v21, null, s3, v9, vcc_lo
	ds_load_b128 v[8:11], v32 offset:32
	v_add_co_u32 v22, vcc_lo, s2, v12
	s_wait_alu 0xfffd
	v_add_co_ci_u32_e64 v23, null, s3, v13, vcc_lo
	;; [unrolled: 4-line block ×3, first 2 shown]
	v_add_co_u32 v18, vcc_lo, s2, v18
	s_wait_alu 0xfffd
	v_add_co_ci_u32_e64 v19, null, s3, v19, vcc_lo
	s_wait_dscnt 0x3
	s_clause 0x3
	global_store_b32 v[20:21], v0, off
	global_store_b32 v[20:21], v1, off offset:1024
	global_store_b32 v[20:21], v2, off offset:2048
	global_store_b32 v[20:21], v3, off offset:3072
	s_wait_dscnt 0x2
	s_clause 0x3
	global_store_b32 v[20:21], v4, off offset:4096
	global_store_b32 v[20:21], v5, off offset:5120
	global_store_b32 v[20:21], v6, off offset:6144
	global_store_b32 v[20:21], v7, off offset:7168
	s_wait_dscnt 0x1
	s_clause 0x3
	global_store_b32 v[20:21], v8, off offset:8192
	;; [unrolled: 6-line block ×3, first 2 shown]
	global_store_b32 v[22:23], v13, off
	global_store_b32 v[16:17], v14, off
	;; [unrolled: 1-line block ×3, first 2 shown]
	s_endpgm
	.section	.rodata,"a",@progbits
	.p2align	6, 0x0
	.amdhsa_kernel _Z16warp_load_kernelILj256ELj16ELj32ELN6hipcub17WarpLoadAlgorithmE3EiEvPT3_S3_
		.amdhsa_group_segment_fixed_size 16384
		.amdhsa_private_segment_fixed_size 0
		.amdhsa_kernarg_size 16
		.amdhsa_user_sgpr_count 2
		.amdhsa_user_sgpr_dispatch_ptr 0
		.amdhsa_user_sgpr_queue_ptr 0
		.amdhsa_user_sgpr_kernarg_segment_ptr 1
		.amdhsa_user_sgpr_dispatch_id 0
		.amdhsa_user_sgpr_private_segment_size 0
		.amdhsa_wavefront_size32 1
		.amdhsa_uses_dynamic_stack 0
		.amdhsa_enable_private_segment 0
		.amdhsa_system_sgpr_workgroup_id_x 1
		.amdhsa_system_sgpr_workgroup_id_y 0
		.amdhsa_system_sgpr_workgroup_id_z 0
		.amdhsa_system_sgpr_workgroup_info 0
		.amdhsa_system_vgpr_workitem_id 0
		.amdhsa_next_free_vgpr 33
		.amdhsa_next_free_sgpr 5
		.amdhsa_reserve_vcc 1
		.amdhsa_float_round_mode_32 0
		.amdhsa_float_round_mode_16_64 0
		.amdhsa_float_denorm_mode_32 3
		.amdhsa_float_denorm_mode_16_64 3
		.amdhsa_fp16_overflow 0
		.amdhsa_workgroup_processor_mode 1
		.amdhsa_memory_ordered 1
		.amdhsa_forward_progress 1
		.amdhsa_inst_pref_size 7
		.amdhsa_round_robin_scheduling 0
		.amdhsa_exception_fp_ieee_invalid_op 0
		.amdhsa_exception_fp_denorm_src 0
		.amdhsa_exception_fp_ieee_div_zero 0
		.amdhsa_exception_fp_ieee_overflow 0
		.amdhsa_exception_fp_ieee_underflow 0
		.amdhsa_exception_fp_ieee_inexact 0
		.amdhsa_exception_int_div_zero 0
	.end_amdhsa_kernel
	.section	.text._Z16warp_load_kernelILj256ELj16ELj32ELN6hipcub17WarpLoadAlgorithmE3EiEvPT3_S3_,"axG",@progbits,_Z16warp_load_kernelILj256ELj16ELj32ELN6hipcub17WarpLoadAlgorithmE3EiEvPT3_S3_,comdat
.Lfunc_end11:
	.size	_Z16warp_load_kernelILj256ELj16ELj32ELN6hipcub17WarpLoadAlgorithmE3EiEvPT3_S3_, .Lfunc_end11-_Z16warp_load_kernelILj256ELj16ELj32ELN6hipcub17WarpLoadAlgorithmE3EiEvPT3_S3_
                                        ; -- End function
	.set _Z16warp_load_kernelILj256ELj16ELj32ELN6hipcub17WarpLoadAlgorithmE3EiEvPT3_S3_.num_vgpr, 33
	.set _Z16warp_load_kernelILj256ELj16ELj32ELN6hipcub17WarpLoadAlgorithmE3EiEvPT3_S3_.num_agpr, 0
	.set _Z16warp_load_kernelILj256ELj16ELj32ELN6hipcub17WarpLoadAlgorithmE3EiEvPT3_S3_.numbered_sgpr, 5
	.set _Z16warp_load_kernelILj256ELj16ELj32ELN6hipcub17WarpLoadAlgorithmE3EiEvPT3_S3_.num_named_barrier, 0
	.set _Z16warp_load_kernelILj256ELj16ELj32ELN6hipcub17WarpLoadAlgorithmE3EiEvPT3_S3_.private_seg_size, 0
	.set _Z16warp_load_kernelILj256ELj16ELj32ELN6hipcub17WarpLoadAlgorithmE3EiEvPT3_S3_.uses_vcc, 1
	.set _Z16warp_load_kernelILj256ELj16ELj32ELN6hipcub17WarpLoadAlgorithmE3EiEvPT3_S3_.uses_flat_scratch, 0
	.set _Z16warp_load_kernelILj256ELj16ELj32ELN6hipcub17WarpLoadAlgorithmE3EiEvPT3_S3_.has_dyn_sized_stack, 0
	.set _Z16warp_load_kernelILj256ELj16ELj32ELN6hipcub17WarpLoadAlgorithmE3EiEvPT3_S3_.has_recursion, 0
	.set _Z16warp_load_kernelILj256ELj16ELj32ELN6hipcub17WarpLoadAlgorithmE3EiEvPT3_S3_.has_indirect_call, 0
	.section	.AMDGPU.csdata,"",@progbits
; Kernel info:
; codeLenInByte = 808
; TotalNumSgprs: 7
; NumVgprs: 33
; ScratchSize: 0
; MemoryBound: 1
; FloatMode: 240
; IeeeMode: 1
; LDSByteSize: 16384 bytes/workgroup (compile time only)
; SGPRBlocks: 0
; VGPRBlocks: 4
; NumSGPRsForWavesPerEU: 7
; NumVGPRsForWavesPerEU: 33
; Occupancy: 16
; WaveLimiterHint : 1
; COMPUTE_PGM_RSRC2:SCRATCH_EN: 0
; COMPUTE_PGM_RSRC2:USER_SGPR: 2
; COMPUTE_PGM_RSRC2:TRAP_HANDLER: 0
; COMPUTE_PGM_RSRC2:TGID_X_EN: 1
; COMPUTE_PGM_RSRC2:TGID_Y_EN: 0
; COMPUTE_PGM_RSRC2:TGID_Z_EN: 0
; COMPUTE_PGM_RSRC2:TIDIG_COMP_CNT: 0
	.section	.text._Z16warp_load_kernelILj256ELj32ELj32ELN6hipcub17WarpLoadAlgorithmE0EiEvPT3_S3_,"axG",@progbits,_Z16warp_load_kernelILj256ELj32ELj32ELN6hipcub17WarpLoadAlgorithmE0EiEvPT3_S3_,comdat
	.protected	_Z16warp_load_kernelILj256ELj32ELj32ELN6hipcub17WarpLoadAlgorithmE0EiEvPT3_S3_ ; -- Begin function _Z16warp_load_kernelILj256ELj32ELj32ELN6hipcub17WarpLoadAlgorithmE0EiEvPT3_S3_
	.globl	_Z16warp_load_kernelILj256ELj32ELj32ELN6hipcub17WarpLoadAlgorithmE0EiEvPT3_S3_
	.p2align	8
	.type	_Z16warp_load_kernelILj256ELj32ELj32ELN6hipcub17WarpLoadAlgorithmE0EiEvPT3_S3_,@function
_Z16warp_load_kernelILj256ELj32ELj32ELN6hipcub17WarpLoadAlgorithmE0EiEvPT3_S3_: ; @_Z16warp_load_kernelILj256ELj32ELj32ELN6hipcub17WarpLoadAlgorithmE0EiEvPT3_S3_
; %bb.0:
	s_load_b128 s[0:3], s[0:1], 0x0
	v_dual_mov_b32 v34, 0 :: v_dual_lshlrev_b32 v1, 5, v0
	s_lshl_b32 s4, ttmp9, 13
	v_mbcnt_lo_u32_b32 v3, -1, 0
	s_delay_alu instid0(VALU_DEP_2) | instskip(NEXT) | instid1(VALU_DEP_3)
	v_and_or_b32 v33, 0x1c00, v1, s4
	v_mov_b32_e32 v36, v34
	s_delay_alu instid0(VALU_DEP_3) | instskip(NEXT) | instid1(VALU_DEP_3)
	v_dual_mov_b32 v38, v34 :: v_dual_lshlrev_b32 v3, 7, v3
	v_lshlrev_b64_e32 v[1:2], 2, v[33:34]
	v_or_b32_e32 v33, s4, v0
	s_delay_alu instid0(VALU_DEP_1) | instskip(SKIP_4) | instid1(VALU_DEP_1)
	v_or_b32_e32 v35, 0x1d00, v33
	v_or_b32_e32 v37, 0x1e00, v33
	v_lshlrev_b64_e32 v[39:40], 2, v[33:34]
	s_wait_kmcnt 0x0
	v_add_co_u32 v1, vcc_lo, s0, v1
	v_add_co_ci_u32_e64 v2, null, s1, v2, vcc_lo
	v_or_b32_e32 v33, 0x1f00, v33
	s_delay_alu instid0(VALU_DEP_3) | instskip(SKIP_1) | instid1(VALU_DEP_3)
	v_add_co_u32 v29, vcc_lo, v1, v3
	s_wait_alu 0xfffd
	v_add_co_ci_u32_e64 v30, null, 0, v2, vcc_lo
	v_lshlrev_b64_e32 v[35:36], 2, v[35:36]
	v_lshlrev_b64_e32 v[37:38], 2, v[37:38]
	;; [unrolled: 1-line block ×3, first 2 shown]
	s_clause 0x7
	global_load_b128 v[1:4], v[29:30], off
	global_load_b128 v[5:8], v[29:30], off offset:16
	global_load_b128 v[9:12], v[29:30], off offset:32
	;; [unrolled: 1-line block ×7, first 2 shown]
	v_add_co_u32 v39, vcc_lo, s2, v39
	s_wait_alu 0xfffd
	v_add_co_ci_u32_e64 v40, null, s3, v40, vcc_lo
	v_add_co_u32 v35, vcc_lo, s2, v35
	s_wait_alu 0xfffd
	v_add_co_ci_u32_e64 v36, null, s3, v36, vcc_lo
	;; [unrolled: 3-line block ×4, first 2 shown]
	s_wait_loadcnt 0x7
	s_clause 0x3
	global_store_b32 v[39:40], v1, off
	global_store_b32 v[39:40], v2, off offset:1024
	global_store_b32 v[39:40], v3, off offset:2048
	global_store_b32 v[39:40], v4, off offset:3072
	s_wait_loadcnt 0x6
	s_clause 0x3
	global_store_b32 v[39:40], v5, off offset:4096
	global_store_b32 v[39:40], v6, off offset:5120
	global_store_b32 v[39:40], v7, off offset:6144
	global_store_b32 v[39:40], v8, off offset:7168
	s_wait_loadcnt 0x5
	s_clause 0x3
	global_store_b32 v[39:40], v9, off offset:8192
	;; [unrolled: 6-line block ×7, first 2 shown]
	global_store_b32 v[35:36], v30, off
	global_store_b32 v[37:38], v31, off
	;; [unrolled: 1-line block ×3, first 2 shown]
	s_endpgm
	.section	.rodata,"a",@progbits
	.p2align	6, 0x0
	.amdhsa_kernel _Z16warp_load_kernelILj256ELj32ELj32ELN6hipcub17WarpLoadAlgorithmE0EiEvPT3_S3_
		.amdhsa_group_segment_fixed_size 0
		.amdhsa_private_segment_fixed_size 0
		.amdhsa_kernarg_size 16
		.amdhsa_user_sgpr_count 2
		.amdhsa_user_sgpr_dispatch_ptr 0
		.amdhsa_user_sgpr_queue_ptr 0
		.amdhsa_user_sgpr_kernarg_segment_ptr 1
		.amdhsa_user_sgpr_dispatch_id 0
		.amdhsa_user_sgpr_private_segment_size 0
		.amdhsa_wavefront_size32 1
		.amdhsa_uses_dynamic_stack 0
		.amdhsa_enable_private_segment 0
		.amdhsa_system_sgpr_workgroup_id_x 1
		.amdhsa_system_sgpr_workgroup_id_y 0
		.amdhsa_system_sgpr_workgroup_id_z 0
		.amdhsa_system_sgpr_workgroup_info 0
		.amdhsa_system_vgpr_workitem_id 0
		.amdhsa_next_free_vgpr 41
		.amdhsa_next_free_sgpr 5
		.amdhsa_reserve_vcc 1
		.amdhsa_float_round_mode_32 0
		.amdhsa_float_round_mode_16_64 0
		.amdhsa_float_denorm_mode_32 3
		.amdhsa_float_denorm_mode_16_64 3
		.amdhsa_fp16_overflow 0
		.amdhsa_workgroup_processor_mode 1
		.amdhsa_memory_ordered 1
		.amdhsa_forward_progress 1
		.amdhsa_inst_pref_size 7
		.amdhsa_round_robin_scheduling 0
		.amdhsa_exception_fp_ieee_invalid_op 0
		.amdhsa_exception_fp_denorm_src 0
		.amdhsa_exception_fp_ieee_div_zero 0
		.amdhsa_exception_fp_ieee_overflow 0
		.amdhsa_exception_fp_ieee_underflow 0
		.amdhsa_exception_fp_ieee_inexact 0
		.amdhsa_exception_int_div_zero 0
	.end_amdhsa_kernel
	.section	.text._Z16warp_load_kernelILj256ELj32ELj32ELN6hipcub17WarpLoadAlgorithmE0EiEvPT3_S3_,"axG",@progbits,_Z16warp_load_kernelILj256ELj32ELj32ELN6hipcub17WarpLoadAlgorithmE0EiEvPT3_S3_,comdat
.Lfunc_end12:
	.size	_Z16warp_load_kernelILj256ELj32ELj32ELN6hipcub17WarpLoadAlgorithmE0EiEvPT3_S3_, .Lfunc_end12-_Z16warp_load_kernelILj256ELj32ELj32ELN6hipcub17WarpLoadAlgorithmE0EiEvPT3_S3_
                                        ; -- End function
	.set _Z16warp_load_kernelILj256ELj32ELj32ELN6hipcub17WarpLoadAlgorithmE0EiEvPT3_S3_.num_vgpr, 41
	.set _Z16warp_load_kernelILj256ELj32ELj32ELN6hipcub17WarpLoadAlgorithmE0EiEvPT3_S3_.num_agpr, 0
	.set _Z16warp_load_kernelILj256ELj32ELj32ELN6hipcub17WarpLoadAlgorithmE0EiEvPT3_S3_.numbered_sgpr, 5
	.set _Z16warp_load_kernelILj256ELj32ELj32ELN6hipcub17WarpLoadAlgorithmE0EiEvPT3_S3_.num_named_barrier, 0
	.set _Z16warp_load_kernelILj256ELj32ELj32ELN6hipcub17WarpLoadAlgorithmE0EiEvPT3_S3_.private_seg_size, 0
	.set _Z16warp_load_kernelILj256ELj32ELj32ELN6hipcub17WarpLoadAlgorithmE0EiEvPT3_S3_.uses_vcc, 1
	.set _Z16warp_load_kernelILj256ELj32ELj32ELN6hipcub17WarpLoadAlgorithmE0EiEvPT3_S3_.uses_flat_scratch, 0
	.set _Z16warp_load_kernelILj256ELj32ELj32ELN6hipcub17WarpLoadAlgorithmE0EiEvPT3_S3_.has_dyn_sized_stack, 0
	.set _Z16warp_load_kernelILj256ELj32ELj32ELN6hipcub17WarpLoadAlgorithmE0EiEvPT3_S3_.has_recursion, 0
	.set _Z16warp_load_kernelILj256ELj32ELj32ELN6hipcub17WarpLoadAlgorithmE0EiEvPT3_S3_.has_indirect_call, 0
	.section	.AMDGPU.csdata,"",@progbits
; Kernel info:
; codeLenInByte = 788
; TotalNumSgprs: 7
; NumVgprs: 41
; ScratchSize: 0
; MemoryBound: 1
; FloatMode: 240
; IeeeMode: 1
; LDSByteSize: 0 bytes/workgroup (compile time only)
; SGPRBlocks: 0
; VGPRBlocks: 5
; NumSGPRsForWavesPerEU: 7
; NumVGPRsForWavesPerEU: 41
; Occupancy: 16
; WaveLimiterHint : 1
; COMPUTE_PGM_RSRC2:SCRATCH_EN: 0
; COMPUTE_PGM_RSRC2:USER_SGPR: 2
; COMPUTE_PGM_RSRC2:TRAP_HANDLER: 0
; COMPUTE_PGM_RSRC2:TGID_X_EN: 1
; COMPUTE_PGM_RSRC2:TGID_Y_EN: 0
; COMPUTE_PGM_RSRC2:TGID_Z_EN: 0
; COMPUTE_PGM_RSRC2:TIDIG_COMP_CNT: 0
	.section	.text._Z16warp_load_kernelILj256ELj32ELj32ELN6hipcub17WarpLoadAlgorithmE1EiEvPT3_S3_,"axG",@progbits,_Z16warp_load_kernelILj256ELj32ELj32ELN6hipcub17WarpLoadAlgorithmE1EiEvPT3_S3_,comdat
	.protected	_Z16warp_load_kernelILj256ELj32ELj32ELN6hipcub17WarpLoadAlgorithmE1EiEvPT3_S3_ ; -- Begin function _Z16warp_load_kernelILj256ELj32ELj32ELN6hipcub17WarpLoadAlgorithmE1EiEvPT3_S3_
	.globl	_Z16warp_load_kernelILj256ELj32ELj32ELN6hipcub17WarpLoadAlgorithmE1EiEvPT3_S3_
	.p2align	8
	.type	_Z16warp_load_kernelILj256ELj32ELj32ELN6hipcub17WarpLoadAlgorithmE1EiEvPT3_S3_,@function
_Z16warp_load_kernelILj256ELj32ELj32ELN6hipcub17WarpLoadAlgorithmE1EiEvPT3_S3_: ; @_Z16warp_load_kernelILj256ELj32ELj32ELN6hipcub17WarpLoadAlgorithmE1EiEvPT3_S3_
; %bb.0:
	s_load_b128 s[0:3], s[0:1], 0x0
	v_dual_mov_b32 v2, 0 :: v_dual_lshlrev_b32 v1, 5, v0
	s_lshl_b32 s4, ttmp9, 13
	v_mbcnt_lo_u32_b32 v5, -1, 0
	s_delay_alu instid0(VALU_DEP_2) | instskip(NEXT) | instid1(VALU_DEP_3)
	v_and_or_b32 v1, 0x1c00, v1, s4
	v_mov_b32_e32 v6, v2
	s_delay_alu instid0(VALU_DEP_2) | instskip(NEXT) | instid1(VALU_DEP_4)
	v_lshlrev_b64_e32 v[3:4], 2, v[1:2]
	v_lshlrev_b32_e32 v1, 2, v5
	s_wait_kmcnt 0x0
	s_delay_alu instid0(VALU_DEP_2) | instskip(NEXT) | instid1(VALU_DEP_1)
	v_add_co_u32 v3, vcc_lo, s0, v3
	v_add_co_ci_u32_e64 v4, null, s1, v4, vcc_lo
	s_delay_alu instid0(VALU_DEP_2) | instskip(SKIP_1) | instid1(VALU_DEP_2)
	v_add_co_u32 v3, vcc_lo, v3, v1
	s_wait_alu 0xfffd
	v_add_co_ci_u32_e64 v4, null, 0, v4, vcc_lo
	v_or_b32_e32 v1, s4, v0
	s_clause 0x1f
	global_load_b32 v9, v[3:4], off
	global_load_b32 v10, v[3:4], off offset:128
	global_load_b32 v11, v[3:4], off offset:256
	;; [unrolled: 1-line block ×31, first 2 shown]
	v_mov_b32_e32 v4, v2
	v_or_b32_e32 v3, 0x1d00, v1
	v_or_b32_e32 v5, 0x1e00, v1
	v_lshlrev_b64_e32 v[7:8], 2, v[1:2]
	v_or_b32_e32 v1, 0x1f00, v1
	s_delay_alu instid0(VALU_DEP_4) | instskip(NEXT) | instid1(VALU_DEP_4)
	v_lshlrev_b64_e32 v[3:4], 2, v[3:4]
	v_lshlrev_b64_e32 v[5:6], 2, v[5:6]
	s_delay_alu instid0(VALU_DEP_3)
	v_lshlrev_b64_e32 v[0:1], 2, v[1:2]
	v_add_co_u32 v7, vcc_lo, s2, v7
	s_wait_alu 0xfffd
	v_add_co_ci_u32_e64 v8, null, s3, v8, vcc_lo
	v_add_co_u32 v2, vcc_lo, s2, v3
	s_wait_alu 0xfffd
	v_add_co_ci_u32_e64 v3, null, s3, v4, vcc_lo
	;; [unrolled: 3-line block ×4, first 2 shown]
	s_wait_loadcnt 0x1f
	global_store_b32 v[7:8], v9, off
	s_wait_loadcnt 0x1e
	global_store_b32 v[7:8], v10, off offset:1024
	s_wait_loadcnt 0x1d
	global_store_b32 v[7:8], v11, off offset:2048
	s_wait_loadcnt 0x1c
	global_store_b32 v[7:8], v12, off offset:3072
	s_wait_loadcnt 0x1b
	global_store_b32 v[7:8], v13, off offset:4096
	s_wait_loadcnt 0x1a
	global_store_b32 v[7:8], v14, off offset:5120
	s_wait_loadcnt 0x19
	global_store_b32 v[7:8], v15, off offset:6144
	s_wait_loadcnt 0x18
	global_store_b32 v[7:8], v16, off offset:7168
	s_wait_loadcnt 0x17
	global_store_b32 v[7:8], v17, off offset:8192
	s_wait_loadcnt 0x16
	global_store_b32 v[7:8], v18, off offset:9216
	s_wait_loadcnt 0x15
	global_store_b32 v[7:8], v19, off offset:10240
	s_wait_loadcnt 0x14
	global_store_b32 v[7:8], v20, off offset:11264
	s_wait_loadcnt 0x13
	global_store_b32 v[7:8], v21, off offset:12288
	s_wait_loadcnt 0x12
	global_store_b32 v[7:8], v22, off offset:13312
	s_wait_loadcnt 0x11
	global_store_b32 v[7:8], v23, off offset:14336
	s_wait_loadcnt 0x10
	global_store_b32 v[7:8], v24, off offset:15360
	s_wait_loadcnt 0xf
	global_store_b32 v[7:8], v25, off offset:16384
	s_wait_loadcnt 0xe
	global_store_b32 v[7:8], v26, off offset:17408
	s_wait_loadcnt 0xd
	global_store_b32 v[7:8], v27, off offset:18432
	s_wait_loadcnt 0xc
	global_store_b32 v[7:8], v28, off offset:19456
	s_wait_loadcnt 0xb
	global_store_b32 v[7:8], v29, off offset:20480
	s_wait_loadcnt 0xa
	global_store_b32 v[7:8], v30, off offset:21504
	s_wait_loadcnt 0x9
	global_store_b32 v[7:8], v31, off offset:22528
	s_wait_loadcnt 0x8
	global_store_b32 v[7:8], v32, off offset:23552
	s_wait_loadcnt 0x7
	global_store_b32 v[7:8], v33, off offset:24576
	s_wait_loadcnt 0x6
	global_store_b32 v[7:8], v34, off offset:25600
	s_wait_loadcnt 0x5
	global_store_b32 v[7:8], v35, off offset:26624
	s_wait_loadcnt 0x4
	global_store_b32 v[7:8], v36, off offset:27648
	s_wait_loadcnt 0x3
	global_store_b32 v[7:8], v37, off offset:28672
	s_wait_loadcnt 0x2
	global_store_b32 v[2:3], v38, off
	s_wait_loadcnt 0x1
	global_store_b32 v[4:5], v39, off
	;; [unrolled: 2-line block ×3, first 2 shown]
	s_endpgm
	.section	.rodata,"a",@progbits
	.p2align	6, 0x0
	.amdhsa_kernel _Z16warp_load_kernelILj256ELj32ELj32ELN6hipcub17WarpLoadAlgorithmE1EiEvPT3_S3_
		.amdhsa_group_segment_fixed_size 0
		.amdhsa_private_segment_fixed_size 0
		.amdhsa_kernarg_size 16
		.amdhsa_user_sgpr_count 2
		.amdhsa_user_sgpr_dispatch_ptr 0
		.amdhsa_user_sgpr_queue_ptr 0
		.amdhsa_user_sgpr_kernarg_segment_ptr 1
		.amdhsa_user_sgpr_dispatch_id 0
		.amdhsa_user_sgpr_private_segment_size 0
		.amdhsa_wavefront_size32 1
		.amdhsa_uses_dynamic_stack 0
		.amdhsa_enable_private_segment 0
		.amdhsa_system_sgpr_workgroup_id_x 1
		.amdhsa_system_sgpr_workgroup_id_y 0
		.amdhsa_system_sgpr_workgroup_id_z 0
		.amdhsa_system_sgpr_workgroup_info 0
		.amdhsa_system_vgpr_workitem_id 0
		.amdhsa_next_free_vgpr 41
		.amdhsa_next_free_sgpr 5
		.amdhsa_reserve_vcc 1
		.amdhsa_float_round_mode_32 0
		.amdhsa_float_round_mode_16_64 0
		.amdhsa_float_denorm_mode_32 3
		.amdhsa_float_denorm_mode_16_64 3
		.amdhsa_fp16_overflow 0
		.amdhsa_workgroup_processor_mode 1
		.amdhsa_memory_ordered 1
		.amdhsa_forward_progress 1
		.amdhsa_inst_pref_size 9
		.amdhsa_round_robin_scheduling 0
		.amdhsa_exception_fp_ieee_invalid_op 0
		.amdhsa_exception_fp_denorm_src 0
		.amdhsa_exception_fp_ieee_div_zero 0
		.amdhsa_exception_fp_ieee_overflow 0
		.amdhsa_exception_fp_ieee_underflow 0
		.amdhsa_exception_fp_ieee_inexact 0
		.amdhsa_exception_int_div_zero 0
	.end_amdhsa_kernel
	.section	.text._Z16warp_load_kernelILj256ELj32ELj32ELN6hipcub17WarpLoadAlgorithmE1EiEvPT3_S3_,"axG",@progbits,_Z16warp_load_kernelILj256ELj32ELj32ELN6hipcub17WarpLoadAlgorithmE1EiEvPT3_S3_,comdat
.Lfunc_end13:
	.size	_Z16warp_load_kernelILj256ELj32ELj32ELN6hipcub17WarpLoadAlgorithmE1EiEvPT3_S3_, .Lfunc_end13-_Z16warp_load_kernelILj256ELj32ELj32ELN6hipcub17WarpLoadAlgorithmE1EiEvPT3_S3_
                                        ; -- End function
	.set _Z16warp_load_kernelILj256ELj32ELj32ELN6hipcub17WarpLoadAlgorithmE1EiEvPT3_S3_.num_vgpr, 41
	.set _Z16warp_load_kernelILj256ELj32ELj32ELN6hipcub17WarpLoadAlgorithmE1EiEvPT3_S3_.num_agpr, 0
	.set _Z16warp_load_kernelILj256ELj32ELj32ELN6hipcub17WarpLoadAlgorithmE1EiEvPT3_S3_.numbered_sgpr, 5
	.set _Z16warp_load_kernelILj256ELj32ELj32ELN6hipcub17WarpLoadAlgorithmE1EiEvPT3_S3_.num_named_barrier, 0
	.set _Z16warp_load_kernelILj256ELj32ELj32ELN6hipcub17WarpLoadAlgorithmE1EiEvPT3_S3_.private_seg_size, 0
	.set _Z16warp_load_kernelILj256ELj32ELj32ELN6hipcub17WarpLoadAlgorithmE1EiEvPT3_S3_.uses_vcc, 1
	.set _Z16warp_load_kernelILj256ELj32ELj32ELN6hipcub17WarpLoadAlgorithmE1EiEvPT3_S3_.uses_flat_scratch, 0
	.set _Z16warp_load_kernelILj256ELj32ELj32ELN6hipcub17WarpLoadAlgorithmE1EiEvPT3_S3_.has_dyn_sized_stack, 0
	.set _Z16warp_load_kernelILj256ELj32ELj32ELN6hipcub17WarpLoadAlgorithmE1EiEvPT3_S3_.has_recursion, 0
	.set _Z16warp_load_kernelILj256ELj32ELj32ELN6hipcub17WarpLoadAlgorithmE1EiEvPT3_S3_.has_indirect_call, 0
	.section	.AMDGPU.csdata,"",@progbits
; Kernel info:
; codeLenInByte = 1148
; TotalNumSgprs: 7
; NumVgprs: 41
; ScratchSize: 0
; MemoryBound: 1
; FloatMode: 240
; IeeeMode: 1
; LDSByteSize: 0 bytes/workgroup (compile time only)
; SGPRBlocks: 0
; VGPRBlocks: 5
; NumSGPRsForWavesPerEU: 7
; NumVGPRsForWavesPerEU: 41
; Occupancy: 16
; WaveLimiterHint : 1
; COMPUTE_PGM_RSRC2:SCRATCH_EN: 0
; COMPUTE_PGM_RSRC2:USER_SGPR: 2
; COMPUTE_PGM_RSRC2:TRAP_HANDLER: 0
; COMPUTE_PGM_RSRC2:TGID_X_EN: 1
; COMPUTE_PGM_RSRC2:TGID_Y_EN: 0
; COMPUTE_PGM_RSRC2:TGID_Z_EN: 0
; COMPUTE_PGM_RSRC2:TIDIG_COMP_CNT: 0
	.section	.text._Z16warp_load_kernelILj256ELj32ELj32ELN6hipcub17WarpLoadAlgorithmE2EiEvPT3_S3_,"axG",@progbits,_Z16warp_load_kernelILj256ELj32ELj32ELN6hipcub17WarpLoadAlgorithmE2EiEvPT3_S3_,comdat
	.protected	_Z16warp_load_kernelILj256ELj32ELj32ELN6hipcub17WarpLoadAlgorithmE2EiEvPT3_S3_ ; -- Begin function _Z16warp_load_kernelILj256ELj32ELj32ELN6hipcub17WarpLoadAlgorithmE2EiEvPT3_S3_
	.globl	_Z16warp_load_kernelILj256ELj32ELj32ELN6hipcub17WarpLoadAlgorithmE2EiEvPT3_S3_
	.p2align	8
	.type	_Z16warp_load_kernelILj256ELj32ELj32ELN6hipcub17WarpLoadAlgorithmE2EiEvPT3_S3_,@function
_Z16warp_load_kernelILj256ELj32ELj32ELN6hipcub17WarpLoadAlgorithmE2EiEvPT3_S3_: ; @_Z16warp_load_kernelILj256ELj32ELj32ELN6hipcub17WarpLoadAlgorithmE2EiEvPT3_S3_
; %bb.0:
	s_load_b128 s[0:3], s[0:1], 0x0
	v_dual_mov_b32 v34, 0 :: v_dual_lshlrev_b32 v1, 5, v0
	s_lshl_b32 s4, ttmp9, 13
	v_mbcnt_lo_u32_b32 v3, -1, 0
	s_delay_alu instid0(VALU_DEP_2) | instskip(NEXT) | instid1(VALU_DEP_3)
	v_and_or_b32 v33, 0x1c00, v1, s4
	v_mov_b32_e32 v36, v34
	s_delay_alu instid0(VALU_DEP_3) | instskip(NEXT) | instid1(VALU_DEP_3)
	v_dual_mov_b32 v38, v34 :: v_dual_lshlrev_b32 v3, 7, v3
	v_lshlrev_b64_e32 v[1:2], 2, v[33:34]
	v_or_b32_e32 v33, s4, v0
	s_delay_alu instid0(VALU_DEP_1) | instskip(SKIP_4) | instid1(VALU_DEP_1)
	v_or_b32_e32 v35, 0x1d00, v33
	v_or_b32_e32 v37, 0x1e00, v33
	v_lshlrev_b64_e32 v[39:40], 2, v[33:34]
	s_wait_kmcnt 0x0
	v_add_co_u32 v1, vcc_lo, s0, v1
	v_add_co_ci_u32_e64 v2, null, s1, v2, vcc_lo
	v_or_b32_e32 v33, 0x1f00, v33
	s_delay_alu instid0(VALU_DEP_3) | instskip(SKIP_1) | instid1(VALU_DEP_3)
	v_add_co_u32 v29, vcc_lo, v1, v3
	s_wait_alu 0xfffd
	v_add_co_ci_u32_e64 v30, null, 0, v2, vcc_lo
	v_lshlrev_b64_e32 v[35:36], 2, v[35:36]
	v_lshlrev_b64_e32 v[37:38], 2, v[37:38]
	;; [unrolled: 1-line block ×3, first 2 shown]
	s_clause 0x7
	global_load_b128 v[1:4], v[29:30], off
	global_load_b128 v[5:8], v[29:30], off offset:16
	global_load_b128 v[9:12], v[29:30], off offset:32
	;; [unrolled: 1-line block ×7, first 2 shown]
	v_add_co_u32 v39, vcc_lo, s2, v39
	s_wait_alu 0xfffd
	v_add_co_ci_u32_e64 v40, null, s3, v40, vcc_lo
	v_add_co_u32 v35, vcc_lo, s2, v35
	s_wait_alu 0xfffd
	v_add_co_ci_u32_e64 v36, null, s3, v36, vcc_lo
	;; [unrolled: 3-line block ×4, first 2 shown]
	s_wait_loadcnt 0x7
	s_clause 0x3
	global_store_b32 v[39:40], v1, off
	global_store_b32 v[39:40], v2, off offset:1024
	global_store_b32 v[39:40], v3, off offset:2048
	global_store_b32 v[39:40], v4, off offset:3072
	s_wait_loadcnt 0x6
	s_clause 0x3
	global_store_b32 v[39:40], v5, off offset:4096
	global_store_b32 v[39:40], v6, off offset:5120
	global_store_b32 v[39:40], v7, off offset:6144
	global_store_b32 v[39:40], v8, off offset:7168
	s_wait_loadcnt 0x5
	s_clause 0x3
	global_store_b32 v[39:40], v9, off offset:8192
	;; [unrolled: 6-line block ×7, first 2 shown]
	global_store_b32 v[35:36], v30, off
	global_store_b32 v[37:38], v31, off
	;; [unrolled: 1-line block ×3, first 2 shown]
	s_endpgm
	.section	.rodata,"a",@progbits
	.p2align	6, 0x0
	.amdhsa_kernel _Z16warp_load_kernelILj256ELj32ELj32ELN6hipcub17WarpLoadAlgorithmE2EiEvPT3_S3_
		.amdhsa_group_segment_fixed_size 0
		.amdhsa_private_segment_fixed_size 0
		.amdhsa_kernarg_size 16
		.amdhsa_user_sgpr_count 2
		.amdhsa_user_sgpr_dispatch_ptr 0
		.amdhsa_user_sgpr_queue_ptr 0
		.amdhsa_user_sgpr_kernarg_segment_ptr 1
		.amdhsa_user_sgpr_dispatch_id 0
		.amdhsa_user_sgpr_private_segment_size 0
		.amdhsa_wavefront_size32 1
		.amdhsa_uses_dynamic_stack 0
		.amdhsa_enable_private_segment 0
		.amdhsa_system_sgpr_workgroup_id_x 1
		.amdhsa_system_sgpr_workgroup_id_y 0
		.amdhsa_system_sgpr_workgroup_id_z 0
		.amdhsa_system_sgpr_workgroup_info 0
		.amdhsa_system_vgpr_workitem_id 0
		.amdhsa_next_free_vgpr 41
		.amdhsa_next_free_sgpr 5
		.amdhsa_reserve_vcc 1
		.amdhsa_float_round_mode_32 0
		.amdhsa_float_round_mode_16_64 0
		.amdhsa_float_denorm_mode_32 3
		.amdhsa_float_denorm_mode_16_64 3
		.amdhsa_fp16_overflow 0
		.amdhsa_workgroup_processor_mode 1
		.amdhsa_memory_ordered 1
		.amdhsa_forward_progress 1
		.amdhsa_inst_pref_size 7
		.amdhsa_round_robin_scheduling 0
		.amdhsa_exception_fp_ieee_invalid_op 0
		.amdhsa_exception_fp_denorm_src 0
		.amdhsa_exception_fp_ieee_div_zero 0
		.amdhsa_exception_fp_ieee_overflow 0
		.amdhsa_exception_fp_ieee_underflow 0
		.amdhsa_exception_fp_ieee_inexact 0
		.amdhsa_exception_int_div_zero 0
	.end_amdhsa_kernel
	.section	.text._Z16warp_load_kernelILj256ELj32ELj32ELN6hipcub17WarpLoadAlgorithmE2EiEvPT3_S3_,"axG",@progbits,_Z16warp_load_kernelILj256ELj32ELj32ELN6hipcub17WarpLoadAlgorithmE2EiEvPT3_S3_,comdat
.Lfunc_end14:
	.size	_Z16warp_load_kernelILj256ELj32ELj32ELN6hipcub17WarpLoadAlgorithmE2EiEvPT3_S3_, .Lfunc_end14-_Z16warp_load_kernelILj256ELj32ELj32ELN6hipcub17WarpLoadAlgorithmE2EiEvPT3_S3_
                                        ; -- End function
	.set _Z16warp_load_kernelILj256ELj32ELj32ELN6hipcub17WarpLoadAlgorithmE2EiEvPT3_S3_.num_vgpr, 41
	.set _Z16warp_load_kernelILj256ELj32ELj32ELN6hipcub17WarpLoadAlgorithmE2EiEvPT3_S3_.num_agpr, 0
	.set _Z16warp_load_kernelILj256ELj32ELj32ELN6hipcub17WarpLoadAlgorithmE2EiEvPT3_S3_.numbered_sgpr, 5
	.set _Z16warp_load_kernelILj256ELj32ELj32ELN6hipcub17WarpLoadAlgorithmE2EiEvPT3_S3_.num_named_barrier, 0
	.set _Z16warp_load_kernelILj256ELj32ELj32ELN6hipcub17WarpLoadAlgorithmE2EiEvPT3_S3_.private_seg_size, 0
	.set _Z16warp_load_kernelILj256ELj32ELj32ELN6hipcub17WarpLoadAlgorithmE2EiEvPT3_S3_.uses_vcc, 1
	.set _Z16warp_load_kernelILj256ELj32ELj32ELN6hipcub17WarpLoadAlgorithmE2EiEvPT3_S3_.uses_flat_scratch, 0
	.set _Z16warp_load_kernelILj256ELj32ELj32ELN6hipcub17WarpLoadAlgorithmE2EiEvPT3_S3_.has_dyn_sized_stack, 0
	.set _Z16warp_load_kernelILj256ELj32ELj32ELN6hipcub17WarpLoadAlgorithmE2EiEvPT3_S3_.has_recursion, 0
	.set _Z16warp_load_kernelILj256ELj32ELj32ELN6hipcub17WarpLoadAlgorithmE2EiEvPT3_S3_.has_indirect_call, 0
	.section	.AMDGPU.csdata,"",@progbits
; Kernel info:
; codeLenInByte = 788
; TotalNumSgprs: 7
; NumVgprs: 41
; ScratchSize: 0
; MemoryBound: 1
; FloatMode: 240
; IeeeMode: 1
; LDSByteSize: 0 bytes/workgroup (compile time only)
; SGPRBlocks: 0
; VGPRBlocks: 5
; NumSGPRsForWavesPerEU: 7
; NumVGPRsForWavesPerEU: 41
; Occupancy: 16
; WaveLimiterHint : 1
; COMPUTE_PGM_RSRC2:SCRATCH_EN: 0
; COMPUTE_PGM_RSRC2:USER_SGPR: 2
; COMPUTE_PGM_RSRC2:TRAP_HANDLER: 0
; COMPUTE_PGM_RSRC2:TGID_X_EN: 1
; COMPUTE_PGM_RSRC2:TGID_Y_EN: 0
; COMPUTE_PGM_RSRC2:TGID_Z_EN: 0
; COMPUTE_PGM_RSRC2:TIDIG_COMP_CNT: 0
	.section	.text._Z16warp_load_kernelILj256ELj32ELj32ELN6hipcub17WarpLoadAlgorithmE3EiEvPT3_S3_,"axG",@progbits,_Z16warp_load_kernelILj256ELj32ELj32ELN6hipcub17WarpLoadAlgorithmE3EiEvPT3_S3_,comdat
	.protected	_Z16warp_load_kernelILj256ELj32ELj32ELN6hipcub17WarpLoadAlgorithmE3EiEvPT3_S3_ ; -- Begin function _Z16warp_load_kernelILj256ELj32ELj32ELN6hipcub17WarpLoadAlgorithmE3EiEvPT3_S3_
	.globl	_Z16warp_load_kernelILj256ELj32ELj32ELN6hipcub17WarpLoadAlgorithmE3EiEvPT3_S3_
	.p2align	8
	.type	_Z16warp_load_kernelILj256ELj32ELj32ELN6hipcub17WarpLoadAlgorithmE3EiEvPT3_S3_,@function
_Z16warp_load_kernelILj256ELj32ELj32ELN6hipcub17WarpLoadAlgorithmE3EiEvPT3_S3_: ; @_Z16warp_load_kernelILj256ELj32ELj32ELN6hipcub17WarpLoadAlgorithmE3EiEvPT3_S3_
; %bb.0:
	s_load_b128 s[0:3], s[0:1], 0x0
	v_lshrrev_b32_e32 v5, 5, v0
	s_lshl_b32 s4, ttmp9, 13
	v_mbcnt_lo_u32_b32 v7, -1, 0
	v_mov_b32_e32 v2, 0
	s_delay_alu instid0(VALU_DEP_3) | instskip(NEXT) | instid1(VALU_DEP_1)
	v_lshl_or_b32 v1, v5, 10, s4
	v_lshlrev_b64_e32 v[3:4], 2, v[1:2]
	s_delay_alu instid0(VALU_DEP_4) | instskip(SKIP_1) | instid1(VALU_DEP_2)
	v_lshlrev_b32_e32 v1, 2, v7
	s_wait_kmcnt 0x0
	v_add_co_u32 v3, vcc_lo, s0, v3
	s_delay_alu instid0(VALU_DEP_1) | instskip(NEXT) | instid1(VALU_DEP_2)
	v_add_co_ci_u32_e64 v4, null, s1, v4, vcc_lo
	v_add_co_u32 v3, vcc_lo, v3, v1
	s_wait_alu 0xfffd
	s_delay_alu instid0(VALU_DEP_2)
	v_add_co_ci_u32_e64 v4, null, 0, v4, vcc_lo
	s_clause 0x1f
	global_load_b32 v11, v[3:4], off
	global_load_b32 v14, v[3:4], off offset:128
	global_load_b32 v15, v[3:4], off offset:256
	;; [unrolled: 1-line block ×31, first 2 shown]
	v_dual_mov_b32 v4, v2 :: v_dual_lshlrev_b32 v3, 12, v5
	s_delay_alu instid0(VALU_DEP_1) | instskip(SKIP_2) | instid1(VALU_DEP_3)
	v_or_b32_e32 v49, v3, v1
	v_or_b32_e32 v1, s4, v0
	v_lshl_or_b32 v50, v7, 7, v3
	v_dual_mov_b32 v6, v2 :: v_dual_add_nc_u32 v51, 0x800, v49
	s_delay_alu instid0(VALU_DEP_3)
	v_or_b32_e32 v3, 0x1d00, v1
	v_or_b32_e32 v5, 0x1e00, v1
	v_lshlrev_b64_e32 v[7:8], 2, v[1:2]
	v_or_b32_e32 v1, 0x1f00, v1
	v_add_nc_u32_e32 v0, 0x400, v49
	v_lshlrev_b64_e32 v[9:10], 2, v[3:4]
	v_lshlrev_b64_e32 v[12:13], 2, v[5:6]
	v_add_nc_u32_e32 v52, 0xc00, v49
	v_lshlrev_b64_e32 v[16:17], 2, v[1:2]
	v_add_co_u32 v32, vcc_lo, s2, v7
	s_wait_alu 0xfffd
	v_add_co_ci_u32_e64 v33, null, s3, v8, vcc_lo
	s_wait_loadcnt 0x1e
	ds_store_2addr_b32 v49, v11, v14 offset1:32
	s_wait_loadcnt 0x1c
	ds_store_2addr_b32 v49, v15, v18 offset0:64 offset1:96
	s_wait_loadcnt 0x1a
	ds_store_2addr_b32 v49, v19, v20 offset0:128 offset1:160
	s_wait_loadcnt 0x18
	ds_store_2addr_b32 v49, v21, v22 offset0:192 offset1:224
	s_wait_loadcnt 0x16
	ds_store_2addr_b32 v0, v23, v24 offset1:32
	s_wait_loadcnt 0x14
	ds_store_2addr_b32 v0, v25, v26 offset0:64 offset1:96
	s_wait_loadcnt 0x12
	ds_store_2addr_b32 v0, v27, v28 offset0:128 offset1:160
	s_wait_loadcnt 0x10
	ds_store_2addr_b32 v0, v29, v30 offset0:192 offset1:224
	;; [unrolled: 8-line block ×4, first 2 shown]
	v_add_co_u32 v34, vcc_lo, s2, v9
	s_wait_alu 0xfffd
	v_add_co_ci_u32_e64 v35, null, s3, v10, vcc_lo
	v_add_co_u32 v36, vcc_lo, s2, v12
	s_wait_alu 0xfffd
	v_add_co_ci_u32_e64 v37, null, s3, v13, vcc_lo
	v_add_co_u32 v38, vcc_lo, s2, v16
	; wave barrier
	ds_load_b128 v[0:3], v50
	ds_load_b128 v[4:7], v50 offset:16
	ds_load_b128 v[8:11], v50 offset:32
	;; [unrolled: 1-line block ×3, first 2 shown]
	s_wait_alu 0xfffd
	v_add_co_ci_u32_e64 v39, null, s3, v17, vcc_lo
	ds_load_b128 v[16:19], v50 offset:64
	ds_load_b128 v[20:23], v50 offset:80
	;; [unrolled: 1-line block ×4, first 2 shown]
	s_wait_dscnt 0x7
	s_clause 0x3
	global_store_b32 v[32:33], v0, off
	global_store_b32 v[32:33], v1, off offset:1024
	global_store_b32 v[32:33], v2, off offset:2048
	global_store_b32 v[32:33], v3, off offset:3072
	s_wait_dscnt 0x6
	s_clause 0x3
	global_store_b32 v[32:33], v4, off offset:4096
	global_store_b32 v[32:33], v5, off offset:5120
	global_store_b32 v[32:33], v6, off offset:6144
	global_store_b32 v[32:33], v7, off offset:7168
	s_wait_dscnt 0x5
	s_clause 0x3
	global_store_b32 v[32:33], v8, off offset:8192
	;; [unrolled: 6-line block ×7, first 2 shown]
	global_store_b32 v[34:35], v29, off
	global_store_b32 v[36:37], v30, off
	;; [unrolled: 1-line block ×3, first 2 shown]
	s_endpgm
	.section	.rodata,"a",@progbits
	.p2align	6, 0x0
	.amdhsa_kernel _Z16warp_load_kernelILj256ELj32ELj32ELN6hipcub17WarpLoadAlgorithmE3EiEvPT3_S3_
		.amdhsa_group_segment_fixed_size 32768
		.amdhsa_private_segment_fixed_size 0
		.amdhsa_kernarg_size 16
		.amdhsa_user_sgpr_count 2
		.amdhsa_user_sgpr_dispatch_ptr 0
		.amdhsa_user_sgpr_queue_ptr 0
		.amdhsa_user_sgpr_kernarg_segment_ptr 1
		.amdhsa_user_sgpr_dispatch_id 0
		.amdhsa_user_sgpr_private_segment_size 0
		.amdhsa_wavefront_size32 1
		.amdhsa_uses_dynamic_stack 0
		.amdhsa_enable_private_segment 0
		.amdhsa_system_sgpr_workgroup_id_x 1
		.amdhsa_system_sgpr_workgroup_id_y 0
		.amdhsa_system_sgpr_workgroup_id_z 0
		.amdhsa_system_sgpr_workgroup_info 0
		.amdhsa_system_vgpr_workitem_id 0
		.amdhsa_next_free_vgpr 169
		.amdhsa_next_free_sgpr 5
		.amdhsa_reserve_vcc 1
		.amdhsa_float_round_mode_32 0
		.amdhsa_float_round_mode_16_64 0
		.amdhsa_float_denorm_mode_32 3
		.amdhsa_float_denorm_mode_16_64 3
		.amdhsa_fp16_overflow 0
		.amdhsa_workgroup_processor_mode 1
		.amdhsa_memory_ordered 1
		.amdhsa_forward_progress 1
		.amdhsa_inst_pref_size 11
		.amdhsa_round_robin_scheduling 0
		.amdhsa_exception_fp_ieee_invalid_op 0
		.amdhsa_exception_fp_denorm_src 0
		.amdhsa_exception_fp_ieee_div_zero 0
		.amdhsa_exception_fp_ieee_overflow 0
		.amdhsa_exception_fp_ieee_underflow 0
		.amdhsa_exception_fp_ieee_inexact 0
		.amdhsa_exception_int_div_zero 0
	.end_amdhsa_kernel
	.section	.text._Z16warp_load_kernelILj256ELj32ELj32ELN6hipcub17WarpLoadAlgorithmE3EiEvPT3_S3_,"axG",@progbits,_Z16warp_load_kernelILj256ELj32ELj32ELN6hipcub17WarpLoadAlgorithmE3EiEvPT3_S3_,comdat
.Lfunc_end15:
	.size	_Z16warp_load_kernelILj256ELj32ELj32ELN6hipcub17WarpLoadAlgorithmE3EiEvPT3_S3_, .Lfunc_end15-_Z16warp_load_kernelILj256ELj32ELj32ELN6hipcub17WarpLoadAlgorithmE3EiEvPT3_S3_
                                        ; -- End function
	.set _Z16warp_load_kernelILj256ELj32ELj32ELN6hipcub17WarpLoadAlgorithmE3EiEvPT3_S3_.num_vgpr, 53
	.set _Z16warp_load_kernelILj256ELj32ELj32ELN6hipcub17WarpLoadAlgorithmE3EiEvPT3_S3_.num_agpr, 0
	.set _Z16warp_load_kernelILj256ELj32ELj32ELN6hipcub17WarpLoadAlgorithmE3EiEvPT3_S3_.numbered_sgpr, 5
	.set _Z16warp_load_kernelILj256ELj32ELj32ELN6hipcub17WarpLoadAlgorithmE3EiEvPT3_S3_.num_named_barrier, 0
	.set _Z16warp_load_kernelILj256ELj32ELj32ELN6hipcub17WarpLoadAlgorithmE3EiEvPT3_S3_.private_seg_size, 0
	.set _Z16warp_load_kernelILj256ELj32ELj32ELN6hipcub17WarpLoadAlgorithmE3EiEvPT3_S3_.uses_vcc, 1
	.set _Z16warp_load_kernelILj256ELj32ELj32ELN6hipcub17WarpLoadAlgorithmE3EiEvPT3_S3_.uses_flat_scratch, 0
	.set _Z16warp_load_kernelILj256ELj32ELj32ELN6hipcub17WarpLoadAlgorithmE3EiEvPT3_S3_.has_dyn_sized_stack, 0
	.set _Z16warp_load_kernelILj256ELj32ELj32ELN6hipcub17WarpLoadAlgorithmE3EiEvPT3_S3_.has_recursion, 0
	.set _Z16warp_load_kernelILj256ELj32ELj32ELN6hipcub17WarpLoadAlgorithmE3EiEvPT3_S3_.has_indirect_call, 0
	.section	.AMDGPU.csdata,"",@progbits
; Kernel info:
; codeLenInByte = 1376
; TotalNumSgprs: 7
; NumVgprs: 53
; ScratchSize: 0
; MemoryBound: 1
; FloatMode: 240
; IeeeMode: 1
; LDSByteSize: 32768 bytes/workgroup (compile time only)
; SGPRBlocks: 0
; VGPRBlocks: 21
; NumSGPRsForWavesPerEU: 7
; NumVGPRsForWavesPerEU: 169
; Occupancy: 8
; WaveLimiterHint : 1
; COMPUTE_PGM_RSRC2:SCRATCH_EN: 0
; COMPUTE_PGM_RSRC2:USER_SGPR: 2
; COMPUTE_PGM_RSRC2:TRAP_HANDLER: 0
; COMPUTE_PGM_RSRC2:TGID_X_EN: 1
; COMPUTE_PGM_RSRC2:TGID_Y_EN: 0
; COMPUTE_PGM_RSRC2:TGID_Z_EN: 0
; COMPUTE_PGM_RSRC2:TIDIG_COMP_CNT: 0
	.section	.text._Z16warp_load_kernelILj256ELj64ELj32ELN6hipcub17WarpLoadAlgorithmE0EiEvPT3_S3_,"axG",@progbits,_Z16warp_load_kernelILj256ELj64ELj32ELN6hipcub17WarpLoadAlgorithmE0EiEvPT3_S3_,comdat
	.protected	_Z16warp_load_kernelILj256ELj64ELj32ELN6hipcub17WarpLoadAlgorithmE0EiEvPT3_S3_ ; -- Begin function _Z16warp_load_kernelILj256ELj64ELj32ELN6hipcub17WarpLoadAlgorithmE0EiEvPT3_S3_
	.globl	_Z16warp_load_kernelILj256ELj64ELj32ELN6hipcub17WarpLoadAlgorithmE0EiEvPT3_S3_
	.p2align	8
	.type	_Z16warp_load_kernelILj256ELj64ELj32ELN6hipcub17WarpLoadAlgorithmE0EiEvPT3_S3_,@function
_Z16warp_load_kernelILj256ELj64ELj32ELN6hipcub17WarpLoadAlgorithmE0EiEvPT3_S3_: ; @_Z16warp_load_kernelILj256ELj64ELj32ELN6hipcub17WarpLoadAlgorithmE0EiEvPT3_S3_
; %bb.0:
	s_load_b128 s[0:3], s[0:1], 0x0
	v_dual_mov_b32 v66, 0 :: v_dual_lshlrev_b32 v1, 6, v0
	s_lshl_b32 s4, ttmp9, 14
	v_mbcnt_lo_u32_b32 v3, -1, 0
	s_delay_alu instid0(VALU_DEP_2) | instskip(NEXT) | instid1(VALU_DEP_3)
	v_and_or_b32 v65, 0x3800, v1, s4
	v_mov_b32_e32 v68, v66
	s_delay_alu instid0(VALU_DEP_3) | instskip(NEXT) | instid1(VALU_DEP_3)
	v_dual_mov_b32 v70, v66 :: v_dual_lshlrev_b32 v3, 8, v3
	v_lshlrev_b64_e32 v[1:2], 2, v[65:66]
	v_or_b32_e32 v65, s4, v0
	s_delay_alu instid0(VALU_DEP_1) | instskip(SKIP_4) | instid1(VALU_DEP_1)
	v_or_b32_e32 v67, 0x3d00, v65
	v_or_b32_e32 v69, 0x3e00, v65
	v_lshlrev_b64_e32 v[71:72], 2, v[65:66]
	s_wait_kmcnt 0x0
	v_add_co_u32 v1, vcc_lo, s0, v1
	v_add_co_ci_u32_e64 v2, null, s1, v2, vcc_lo
	v_or_b32_e32 v65, 0x3f00, v65
	s_delay_alu instid0(VALU_DEP_3) | instskip(SKIP_1) | instid1(VALU_DEP_3)
	v_add_co_u32 v61, vcc_lo, v1, v3
	s_wait_alu 0xfffd
	v_add_co_ci_u32_e64 v62, null, 0, v2, vcc_lo
	v_lshlrev_b64_e32 v[67:68], 2, v[67:68]
	v_lshlrev_b64_e32 v[69:70], 2, v[69:70]
	;; [unrolled: 1-line block ×3, first 2 shown]
	s_clause 0xf
	global_load_b128 v[1:4], v[61:62], off
	global_load_b128 v[5:8], v[61:62], off offset:16
	global_load_b128 v[9:12], v[61:62], off offset:32
	;; [unrolled: 1-line block ×15, first 2 shown]
	v_add_co_u32 v71, vcc_lo, s2, v71
	s_wait_alu 0xfffd
	v_add_co_ci_u32_e64 v72, null, s3, v72, vcc_lo
	v_add_co_u32 v67, vcc_lo, s2, v67
	s_wait_alu 0xfffd
	v_add_co_ci_u32_e64 v68, null, s3, v68, vcc_lo
	;; [unrolled: 3-line block ×4, first 2 shown]
	s_wait_loadcnt 0xf
	s_clause 0x3
	global_store_b32 v[71:72], v1, off
	global_store_b32 v[71:72], v2, off offset:1024
	global_store_b32 v[71:72], v3, off offset:2048
	global_store_b32 v[71:72], v4, off offset:3072
	s_wait_loadcnt 0xe
	s_clause 0x3
	global_store_b32 v[71:72], v5, off offset:4096
	global_store_b32 v[71:72], v6, off offset:5120
	global_store_b32 v[71:72], v7, off offset:6144
	global_store_b32 v[71:72], v8, off offset:7168
	s_wait_loadcnt 0xd
	s_clause 0x3
	global_store_b32 v[71:72], v9, off offset:8192
	;; [unrolled: 6-line block ×15, first 2 shown]
	global_store_b32 v[67:68], v62, off
	global_store_b32 v[69:70], v63, off
	;; [unrolled: 1-line block ×3, first 2 shown]
	s_endpgm
	.section	.rodata,"a",@progbits
	.p2align	6, 0x0
	.amdhsa_kernel _Z16warp_load_kernelILj256ELj64ELj32ELN6hipcub17WarpLoadAlgorithmE0EiEvPT3_S3_
		.amdhsa_group_segment_fixed_size 0
		.amdhsa_private_segment_fixed_size 0
		.amdhsa_kernarg_size 16
		.amdhsa_user_sgpr_count 2
		.amdhsa_user_sgpr_dispatch_ptr 0
		.amdhsa_user_sgpr_queue_ptr 0
		.amdhsa_user_sgpr_kernarg_segment_ptr 1
		.amdhsa_user_sgpr_dispatch_id 0
		.amdhsa_user_sgpr_private_segment_size 0
		.amdhsa_wavefront_size32 1
		.amdhsa_uses_dynamic_stack 0
		.amdhsa_enable_private_segment 0
		.amdhsa_system_sgpr_workgroup_id_x 1
		.amdhsa_system_sgpr_workgroup_id_y 0
		.amdhsa_system_sgpr_workgroup_id_z 0
		.amdhsa_system_sgpr_workgroup_info 0
		.amdhsa_system_vgpr_workitem_id 0
		.amdhsa_next_free_vgpr 73
		.amdhsa_next_free_sgpr 5
		.amdhsa_reserve_vcc 1
		.amdhsa_float_round_mode_32 0
		.amdhsa_float_round_mode_16_64 0
		.amdhsa_float_denorm_mode_32 3
		.amdhsa_float_denorm_mode_16_64 3
		.amdhsa_fp16_overflow 0
		.amdhsa_workgroup_processor_mode 1
		.amdhsa_memory_ordered 1
		.amdhsa_forward_progress 1
		.amdhsa_inst_pref_size 11
		.amdhsa_round_robin_scheduling 0
		.amdhsa_exception_fp_ieee_invalid_op 0
		.amdhsa_exception_fp_denorm_src 0
		.amdhsa_exception_fp_ieee_div_zero 0
		.amdhsa_exception_fp_ieee_overflow 0
		.amdhsa_exception_fp_ieee_underflow 0
		.amdhsa_exception_fp_ieee_inexact 0
		.amdhsa_exception_int_div_zero 0
	.end_amdhsa_kernel
	.section	.text._Z16warp_load_kernelILj256ELj64ELj32ELN6hipcub17WarpLoadAlgorithmE0EiEvPT3_S3_,"axG",@progbits,_Z16warp_load_kernelILj256ELj64ELj32ELN6hipcub17WarpLoadAlgorithmE0EiEvPT3_S3_,comdat
.Lfunc_end16:
	.size	_Z16warp_load_kernelILj256ELj64ELj32ELN6hipcub17WarpLoadAlgorithmE0EiEvPT3_S3_, .Lfunc_end16-_Z16warp_load_kernelILj256ELj64ELj32ELN6hipcub17WarpLoadAlgorithmE0EiEvPT3_S3_
                                        ; -- End function
	.set _Z16warp_load_kernelILj256ELj64ELj32ELN6hipcub17WarpLoadAlgorithmE0EiEvPT3_S3_.num_vgpr, 73
	.set _Z16warp_load_kernelILj256ELj64ELj32ELN6hipcub17WarpLoadAlgorithmE0EiEvPT3_S3_.num_agpr, 0
	.set _Z16warp_load_kernelILj256ELj64ELj32ELN6hipcub17WarpLoadAlgorithmE0EiEvPT3_S3_.numbered_sgpr, 5
	.set _Z16warp_load_kernelILj256ELj64ELj32ELN6hipcub17WarpLoadAlgorithmE0EiEvPT3_S3_.num_named_barrier, 0
	.set _Z16warp_load_kernelILj256ELj64ELj32ELN6hipcub17WarpLoadAlgorithmE0EiEvPT3_S3_.private_seg_size, 0
	.set _Z16warp_load_kernelILj256ELj64ELj32ELN6hipcub17WarpLoadAlgorithmE0EiEvPT3_S3_.uses_vcc, 1
	.set _Z16warp_load_kernelILj256ELj64ELj32ELN6hipcub17WarpLoadAlgorithmE0EiEvPT3_S3_.uses_flat_scratch, 0
	.set _Z16warp_load_kernelILj256ELj64ELj32ELN6hipcub17WarpLoadAlgorithmE0EiEvPT3_S3_.has_dyn_sized_stack, 0
	.set _Z16warp_load_kernelILj256ELj64ELj32ELN6hipcub17WarpLoadAlgorithmE0EiEvPT3_S3_.has_recursion, 0
	.set _Z16warp_load_kernelILj256ELj64ELj32ELN6hipcub17WarpLoadAlgorithmE0EiEvPT3_S3_.has_indirect_call, 0
	.section	.AMDGPU.csdata,"",@progbits
; Kernel info:
; codeLenInByte = 1332
; TotalNumSgprs: 7
; NumVgprs: 73
; ScratchSize: 0
; MemoryBound: 1
; FloatMode: 240
; IeeeMode: 1
; LDSByteSize: 0 bytes/workgroup (compile time only)
; SGPRBlocks: 0
; VGPRBlocks: 9
; NumSGPRsForWavesPerEU: 7
; NumVGPRsForWavesPerEU: 73
; Occupancy: 16
; WaveLimiterHint : 1
; COMPUTE_PGM_RSRC2:SCRATCH_EN: 0
; COMPUTE_PGM_RSRC2:USER_SGPR: 2
; COMPUTE_PGM_RSRC2:TRAP_HANDLER: 0
; COMPUTE_PGM_RSRC2:TGID_X_EN: 1
; COMPUTE_PGM_RSRC2:TGID_Y_EN: 0
; COMPUTE_PGM_RSRC2:TGID_Z_EN: 0
; COMPUTE_PGM_RSRC2:TIDIG_COMP_CNT: 0
	.section	.text._Z16warp_load_kernelILj256ELj64ELj32ELN6hipcub17WarpLoadAlgorithmE1EiEvPT3_S3_,"axG",@progbits,_Z16warp_load_kernelILj256ELj64ELj32ELN6hipcub17WarpLoadAlgorithmE1EiEvPT3_S3_,comdat
	.protected	_Z16warp_load_kernelILj256ELj64ELj32ELN6hipcub17WarpLoadAlgorithmE1EiEvPT3_S3_ ; -- Begin function _Z16warp_load_kernelILj256ELj64ELj32ELN6hipcub17WarpLoadAlgorithmE1EiEvPT3_S3_
	.globl	_Z16warp_load_kernelILj256ELj64ELj32ELN6hipcub17WarpLoadAlgorithmE1EiEvPT3_S3_
	.p2align	8
	.type	_Z16warp_load_kernelILj256ELj64ELj32ELN6hipcub17WarpLoadAlgorithmE1EiEvPT3_S3_,@function
_Z16warp_load_kernelILj256ELj64ELj32ELN6hipcub17WarpLoadAlgorithmE1EiEvPT3_S3_: ; @_Z16warp_load_kernelILj256ELj64ELj32ELN6hipcub17WarpLoadAlgorithmE1EiEvPT3_S3_
; %bb.0:
	s_load_b128 s[0:3], s[0:1], 0x0
	v_dual_mov_b32 v2, 0 :: v_dual_lshlrev_b32 v1, 6, v0
	s_lshl_b32 s4, ttmp9, 14
	v_mbcnt_lo_u32_b32 v5, -1, 0
	s_delay_alu instid0(VALU_DEP_2) | instskip(NEXT) | instid1(VALU_DEP_3)
	v_and_or_b32 v1, 0x3800, v1, s4
	v_mov_b32_e32 v6, v2
	s_delay_alu instid0(VALU_DEP_2) | instskip(NEXT) | instid1(VALU_DEP_4)
	v_lshlrev_b64_e32 v[3:4], 2, v[1:2]
	v_lshlrev_b32_e32 v1, 2, v5
	s_wait_kmcnt 0x0
	s_delay_alu instid0(VALU_DEP_2) | instskip(NEXT) | instid1(VALU_DEP_1)
	v_add_co_u32 v3, vcc_lo, s0, v3
	v_add_co_ci_u32_e64 v4, null, s1, v4, vcc_lo
	s_delay_alu instid0(VALU_DEP_2) | instskip(SKIP_1) | instid1(VALU_DEP_2)
	v_add_co_u32 v3, vcc_lo, v3, v1
	s_wait_alu 0xfffd
	v_add_co_ci_u32_e64 v4, null, 0, v4, vcc_lo
	v_or_b32_e32 v1, s4, v0
	s_clause 0x1f
	global_load_b32 v9, v[3:4], off
	global_load_b32 v10, v[3:4], off offset:128
	global_load_b32 v11, v[3:4], off offset:256
	;; [unrolled: 1-line block ×31, first 2 shown]
	s_clause 0x1f
	global_load_b32 v41, v[3:4], off offset:4096
	global_load_b32 v42, v[3:4], off offset:4224
	;; [unrolled: 1-line block ×32, first 2 shown]
	v_mov_b32_e32 v4, v2
	v_or_b32_e32 v3, 0x3d00, v1
	v_or_b32_e32 v5, 0x3e00, v1
	v_lshlrev_b64_e32 v[7:8], 2, v[1:2]
	v_or_b32_e32 v1, 0x3f00, v1
	s_delay_alu instid0(VALU_DEP_4) | instskip(NEXT) | instid1(VALU_DEP_4)
	v_lshlrev_b64_e32 v[3:4], 2, v[3:4]
	v_lshlrev_b64_e32 v[5:6], 2, v[5:6]
	s_delay_alu instid0(VALU_DEP_3)
	v_lshlrev_b64_e32 v[0:1], 2, v[1:2]
	v_add_co_u32 v7, vcc_lo, s2, v7
	s_wait_alu 0xfffd
	v_add_co_ci_u32_e64 v8, null, s3, v8, vcc_lo
	v_add_co_u32 v2, vcc_lo, s2, v3
	s_wait_alu 0xfffd
	v_add_co_ci_u32_e64 v3, null, s3, v4, vcc_lo
	;; [unrolled: 3-line block ×4, first 2 shown]
	s_wait_loadcnt 0x3e
	s_clause 0x1
	global_store_b32 v[7:8], v9, off
	global_store_b32 v[7:8], v10, off offset:1024
	s_wait_loadcnt 0x3d
	global_store_b32 v[7:8], v11, off offset:2048
	s_wait_loadcnt 0x3c
	;; [unrolled: 2-line block ×60, first 2 shown]
	global_store_b32 v[2:3], v70, off
	s_wait_loadcnt 0x1
	global_store_b32 v[4:5], v71, off
	s_wait_loadcnt 0x0
	global_store_b32 v[0:1], v72, off
	s_endpgm
	.section	.rodata,"a",@progbits
	.p2align	6, 0x0
	.amdhsa_kernel _Z16warp_load_kernelILj256ELj64ELj32ELN6hipcub17WarpLoadAlgorithmE1EiEvPT3_S3_
		.amdhsa_group_segment_fixed_size 0
		.amdhsa_private_segment_fixed_size 0
		.amdhsa_kernarg_size 16
		.amdhsa_user_sgpr_count 2
		.amdhsa_user_sgpr_dispatch_ptr 0
		.amdhsa_user_sgpr_queue_ptr 0
		.amdhsa_user_sgpr_kernarg_segment_ptr 1
		.amdhsa_user_sgpr_dispatch_id 0
		.amdhsa_user_sgpr_private_segment_size 0
		.amdhsa_wavefront_size32 1
		.amdhsa_uses_dynamic_stack 0
		.amdhsa_enable_private_segment 0
		.amdhsa_system_sgpr_workgroup_id_x 1
		.amdhsa_system_sgpr_workgroup_id_y 0
		.amdhsa_system_sgpr_workgroup_id_z 0
		.amdhsa_system_sgpr_workgroup_info 0
		.amdhsa_system_vgpr_workitem_id 0
		.amdhsa_next_free_vgpr 73
		.amdhsa_next_free_sgpr 5
		.amdhsa_reserve_vcc 1
		.amdhsa_float_round_mode_32 0
		.amdhsa_float_round_mode_16_64 0
		.amdhsa_float_denorm_mode_32 3
		.amdhsa_float_denorm_mode_16_64 3
		.amdhsa_fp16_overflow 0
		.amdhsa_workgroup_processor_mode 1
		.amdhsa_memory_ordered 1
		.amdhsa_forward_progress 1
		.amdhsa_inst_pref_size 16
		.amdhsa_round_robin_scheduling 0
		.amdhsa_exception_fp_ieee_invalid_op 0
		.amdhsa_exception_fp_denorm_src 0
		.amdhsa_exception_fp_ieee_div_zero 0
		.amdhsa_exception_fp_ieee_overflow 0
		.amdhsa_exception_fp_ieee_underflow 0
		.amdhsa_exception_fp_ieee_inexact 0
		.amdhsa_exception_int_div_zero 0
	.end_amdhsa_kernel
	.section	.text._Z16warp_load_kernelILj256ELj64ELj32ELN6hipcub17WarpLoadAlgorithmE1EiEvPT3_S3_,"axG",@progbits,_Z16warp_load_kernelILj256ELj64ELj32ELN6hipcub17WarpLoadAlgorithmE1EiEvPT3_S3_,comdat
.Lfunc_end17:
	.size	_Z16warp_load_kernelILj256ELj64ELj32ELN6hipcub17WarpLoadAlgorithmE1EiEvPT3_S3_, .Lfunc_end17-_Z16warp_load_kernelILj256ELj64ELj32ELN6hipcub17WarpLoadAlgorithmE1EiEvPT3_S3_
                                        ; -- End function
	.set _Z16warp_load_kernelILj256ELj64ELj32ELN6hipcub17WarpLoadAlgorithmE1EiEvPT3_S3_.num_vgpr, 73
	.set _Z16warp_load_kernelILj256ELj64ELj32ELN6hipcub17WarpLoadAlgorithmE1EiEvPT3_S3_.num_agpr, 0
	.set _Z16warp_load_kernelILj256ELj64ELj32ELN6hipcub17WarpLoadAlgorithmE1EiEvPT3_S3_.numbered_sgpr, 5
	.set _Z16warp_load_kernelILj256ELj64ELj32ELN6hipcub17WarpLoadAlgorithmE1EiEvPT3_S3_.num_named_barrier, 0
	.set _Z16warp_load_kernelILj256ELj64ELj32ELN6hipcub17WarpLoadAlgorithmE1EiEvPT3_S3_.private_seg_size, 0
	.set _Z16warp_load_kernelILj256ELj64ELj32ELN6hipcub17WarpLoadAlgorithmE1EiEvPT3_S3_.uses_vcc, 1
	.set _Z16warp_load_kernelILj256ELj64ELj32ELN6hipcub17WarpLoadAlgorithmE1EiEvPT3_S3_.uses_flat_scratch, 0
	.set _Z16warp_load_kernelILj256ELj64ELj32ELN6hipcub17WarpLoadAlgorithmE1EiEvPT3_S3_.has_dyn_sized_stack, 0
	.set _Z16warp_load_kernelILj256ELj64ELj32ELN6hipcub17WarpLoadAlgorithmE1EiEvPT3_S3_.has_recursion, 0
	.set _Z16warp_load_kernelILj256ELj64ELj32ELN6hipcub17WarpLoadAlgorithmE1EiEvPT3_S3_.has_indirect_call, 0
	.section	.AMDGPU.csdata,"",@progbits
; Kernel info:
; codeLenInByte = 2048
; TotalNumSgprs: 7
; NumVgprs: 73
; ScratchSize: 0
; MemoryBound: 1
; FloatMode: 240
; IeeeMode: 1
; LDSByteSize: 0 bytes/workgroup (compile time only)
; SGPRBlocks: 0
; VGPRBlocks: 9
; NumSGPRsForWavesPerEU: 7
; NumVGPRsForWavesPerEU: 73
; Occupancy: 16
; WaveLimiterHint : 1
; COMPUTE_PGM_RSRC2:SCRATCH_EN: 0
; COMPUTE_PGM_RSRC2:USER_SGPR: 2
; COMPUTE_PGM_RSRC2:TRAP_HANDLER: 0
; COMPUTE_PGM_RSRC2:TGID_X_EN: 1
; COMPUTE_PGM_RSRC2:TGID_Y_EN: 0
; COMPUTE_PGM_RSRC2:TGID_Z_EN: 0
; COMPUTE_PGM_RSRC2:TIDIG_COMP_CNT: 0
	.section	.text._Z16warp_load_kernelILj256ELj64ELj32ELN6hipcub17WarpLoadAlgorithmE2EiEvPT3_S3_,"axG",@progbits,_Z16warp_load_kernelILj256ELj64ELj32ELN6hipcub17WarpLoadAlgorithmE2EiEvPT3_S3_,comdat
	.protected	_Z16warp_load_kernelILj256ELj64ELj32ELN6hipcub17WarpLoadAlgorithmE2EiEvPT3_S3_ ; -- Begin function _Z16warp_load_kernelILj256ELj64ELj32ELN6hipcub17WarpLoadAlgorithmE2EiEvPT3_S3_
	.globl	_Z16warp_load_kernelILj256ELj64ELj32ELN6hipcub17WarpLoadAlgorithmE2EiEvPT3_S3_
	.p2align	8
	.type	_Z16warp_load_kernelILj256ELj64ELj32ELN6hipcub17WarpLoadAlgorithmE2EiEvPT3_S3_,@function
_Z16warp_load_kernelILj256ELj64ELj32ELN6hipcub17WarpLoadAlgorithmE2EiEvPT3_S3_: ; @_Z16warp_load_kernelILj256ELj64ELj32ELN6hipcub17WarpLoadAlgorithmE2EiEvPT3_S3_
; %bb.0:
	s_load_b128 s[0:3], s[0:1], 0x0
	v_dual_mov_b32 v66, 0 :: v_dual_lshlrev_b32 v1, 6, v0
	s_lshl_b32 s4, ttmp9, 14
	v_mbcnt_lo_u32_b32 v3, -1, 0
	s_delay_alu instid0(VALU_DEP_2) | instskip(NEXT) | instid1(VALU_DEP_3)
	v_and_or_b32 v65, 0x3800, v1, s4
	v_mov_b32_e32 v68, v66
	s_delay_alu instid0(VALU_DEP_3) | instskip(NEXT) | instid1(VALU_DEP_3)
	v_dual_mov_b32 v70, v66 :: v_dual_lshlrev_b32 v3, 8, v3
	v_lshlrev_b64_e32 v[1:2], 2, v[65:66]
	v_or_b32_e32 v65, s4, v0
	s_delay_alu instid0(VALU_DEP_1) | instskip(SKIP_4) | instid1(VALU_DEP_1)
	v_or_b32_e32 v67, 0x3d00, v65
	v_or_b32_e32 v69, 0x3e00, v65
	v_lshlrev_b64_e32 v[71:72], 2, v[65:66]
	s_wait_kmcnt 0x0
	v_add_co_u32 v1, vcc_lo, s0, v1
	v_add_co_ci_u32_e64 v2, null, s1, v2, vcc_lo
	v_or_b32_e32 v65, 0x3f00, v65
	s_delay_alu instid0(VALU_DEP_3) | instskip(SKIP_1) | instid1(VALU_DEP_3)
	v_add_co_u32 v61, vcc_lo, v1, v3
	s_wait_alu 0xfffd
	v_add_co_ci_u32_e64 v62, null, 0, v2, vcc_lo
	v_lshlrev_b64_e32 v[67:68], 2, v[67:68]
	v_lshlrev_b64_e32 v[69:70], 2, v[69:70]
	;; [unrolled: 1-line block ×3, first 2 shown]
	s_clause 0xf
	global_load_b128 v[1:4], v[61:62], off
	global_load_b128 v[5:8], v[61:62], off offset:16
	global_load_b128 v[9:12], v[61:62], off offset:32
	;; [unrolled: 1-line block ×15, first 2 shown]
	v_add_co_u32 v71, vcc_lo, s2, v71
	s_wait_alu 0xfffd
	v_add_co_ci_u32_e64 v72, null, s3, v72, vcc_lo
	v_add_co_u32 v67, vcc_lo, s2, v67
	s_wait_alu 0xfffd
	v_add_co_ci_u32_e64 v68, null, s3, v68, vcc_lo
	;; [unrolled: 3-line block ×4, first 2 shown]
	s_wait_loadcnt 0xf
	s_clause 0x3
	global_store_b32 v[71:72], v1, off
	global_store_b32 v[71:72], v2, off offset:1024
	global_store_b32 v[71:72], v3, off offset:2048
	global_store_b32 v[71:72], v4, off offset:3072
	s_wait_loadcnt 0xe
	s_clause 0x3
	global_store_b32 v[71:72], v5, off offset:4096
	global_store_b32 v[71:72], v6, off offset:5120
	global_store_b32 v[71:72], v7, off offset:6144
	global_store_b32 v[71:72], v8, off offset:7168
	s_wait_loadcnt 0xd
	s_clause 0x3
	global_store_b32 v[71:72], v9, off offset:8192
	global_store_b32 v[71:72], v10, off offset:9216
	global_store_b32 v[71:72], v11, off offset:10240
	global_store_b32 v[71:72], v12, off offset:11264
	s_wait_loadcnt 0xc
	s_clause 0x3
	global_store_b32 v[71:72], v13, off offset:12288
	global_store_b32 v[71:72], v14, off offset:13312
	global_store_b32 v[71:72], v15, off offset:14336
	global_store_b32 v[71:72], v16, off offset:15360
	s_wait_loadcnt 0xb
	s_clause 0x3
	global_store_b32 v[71:72], v17, off offset:16384
	global_store_b32 v[71:72], v18, off offset:17408
	global_store_b32 v[71:72], v19, off offset:18432
	global_store_b32 v[71:72], v20, off offset:19456
	s_wait_loadcnt 0xa
	s_clause 0x3
	global_store_b32 v[71:72], v21, off offset:20480
	global_store_b32 v[71:72], v22, off offset:21504
	global_store_b32 v[71:72], v23, off offset:22528
	global_store_b32 v[71:72], v24, off offset:23552
	s_wait_loadcnt 0x9
	s_clause 0x3
	global_store_b32 v[71:72], v25, off offset:24576
	global_store_b32 v[71:72], v26, off offset:25600
	global_store_b32 v[71:72], v27, off offset:26624
	global_store_b32 v[71:72], v28, off offset:27648
	s_wait_loadcnt 0x8
	s_clause 0x3
	global_store_b32 v[71:72], v29, off offset:28672
	global_store_b32 v[71:72], v30, off offset:29696
	global_store_b32 v[71:72], v31, off offset:30720
	global_store_b32 v[71:72], v32, off offset:31744
	s_wait_loadcnt 0x7
	s_clause 0x3
	global_store_b32 v[71:72], v33, off offset:32768
	global_store_b32 v[71:72], v34, off offset:33792
	global_store_b32 v[71:72], v35, off offset:34816
	global_store_b32 v[71:72], v36, off offset:35840
	s_wait_loadcnt 0x6
	s_clause 0x3
	global_store_b32 v[71:72], v37, off offset:36864
	global_store_b32 v[71:72], v38, off offset:37888
	global_store_b32 v[71:72], v39, off offset:38912
	global_store_b32 v[71:72], v40, off offset:39936
	s_wait_loadcnt 0x5
	s_clause 0x3
	global_store_b32 v[71:72], v41, off offset:40960
	global_store_b32 v[71:72], v42, off offset:41984
	global_store_b32 v[71:72], v43, off offset:43008
	global_store_b32 v[71:72], v44, off offset:44032
	s_wait_loadcnt 0x4
	s_clause 0x3
	global_store_b32 v[71:72], v45, off offset:45056
	global_store_b32 v[71:72], v46, off offset:46080
	global_store_b32 v[71:72], v47, off offset:47104
	global_store_b32 v[71:72], v48, off offset:48128
	s_wait_loadcnt 0x3
	s_clause 0x3
	global_store_b32 v[71:72], v49, off offset:49152
	global_store_b32 v[71:72], v50, off offset:50176
	global_store_b32 v[71:72], v51, off offset:51200
	global_store_b32 v[71:72], v52, off offset:52224
	s_wait_loadcnt 0x2
	s_clause 0x3
	global_store_b32 v[71:72], v53, off offset:53248
	global_store_b32 v[71:72], v54, off offset:54272
	global_store_b32 v[71:72], v55, off offset:55296
	global_store_b32 v[71:72], v56, off offset:56320
	s_wait_loadcnt 0x1
	s_clause 0x3
	global_store_b32 v[71:72], v57, off offset:57344
	global_store_b32 v[71:72], v58, off offset:58368
	global_store_b32 v[71:72], v59, off offset:59392
	global_store_b32 v[71:72], v60, off offset:60416
	s_wait_loadcnt 0x0
	s_clause 0x3
	global_store_b32 v[71:72], v61, off offset:61440
	global_store_b32 v[67:68], v62, off
	global_store_b32 v[69:70], v63, off
	;; [unrolled: 1-line block ×3, first 2 shown]
	s_endpgm
	.section	.rodata,"a",@progbits
	.p2align	6, 0x0
	.amdhsa_kernel _Z16warp_load_kernelILj256ELj64ELj32ELN6hipcub17WarpLoadAlgorithmE2EiEvPT3_S3_
		.amdhsa_group_segment_fixed_size 0
		.amdhsa_private_segment_fixed_size 0
		.amdhsa_kernarg_size 16
		.amdhsa_user_sgpr_count 2
		.amdhsa_user_sgpr_dispatch_ptr 0
		.amdhsa_user_sgpr_queue_ptr 0
		.amdhsa_user_sgpr_kernarg_segment_ptr 1
		.amdhsa_user_sgpr_dispatch_id 0
		.amdhsa_user_sgpr_private_segment_size 0
		.amdhsa_wavefront_size32 1
		.amdhsa_uses_dynamic_stack 0
		.amdhsa_enable_private_segment 0
		.amdhsa_system_sgpr_workgroup_id_x 1
		.amdhsa_system_sgpr_workgroup_id_y 0
		.amdhsa_system_sgpr_workgroup_id_z 0
		.amdhsa_system_sgpr_workgroup_info 0
		.amdhsa_system_vgpr_workitem_id 0
		.amdhsa_next_free_vgpr 73
		.amdhsa_next_free_sgpr 5
		.amdhsa_reserve_vcc 1
		.amdhsa_float_round_mode_32 0
		.amdhsa_float_round_mode_16_64 0
		.amdhsa_float_denorm_mode_32 3
		.amdhsa_float_denorm_mode_16_64 3
		.amdhsa_fp16_overflow 0
		.amdhsa_workgroup_processor_mode 1
		.amdhsa_memory_ordered 1
		.amdhsa_forward_progress 1
		.amdhsa_inst_pref_size 11
		.amdhsa_round_robin_scheduling 0
		.amdhsa_exception_fp_ieee_invalid_op 0
		.amdhsa_exception_fp_denorm_src 0
		.amdhsa_exception_fp_ieee_div_zero 0
		.amdhsa_exception_fp_ieee_overflow 0
		.amdhsa_exception_fp_ieee_underflow 0
		.amdhsa_exception_fp_ieee_inexact 0
		.amdhsa_exception_int_div_zero 0
	.end_amdhsa_kernel
	.section	.text._Z16warp_load_kernelILj256ELj64ELj32ELN6hipcub17WarpLoadAlgorithmE2EiEvPT3_S3_,"axG",@progbits,_Z16warp_load_kernelILj256ELj64ELj32ELN6hipcub17WarpLoadAlgorithmE2EiEvPT3_S3_,comdat
.Lfunc_end18:
	.size	_Z16warp_load_kernelILj256ELj64ELj32ELN6hipcub17WarpLoadAlgorithmE2EiEvPT3_S3_, .Lfunc_end18-_Z16warp_load_kernelILj256ELj64ELj32ELN6hipcub17WarpLoadAlgorithmE2EiEvPT3_S3_
                                        ; -- End function
	.set _Z16warp_load_kernelILj256ELj64ELj32ELN6hipcub17WarpLoadAlgorithmE2EiEvPT3_S3_.num_vgpr, 73
	.set _Z16warp_load_kernelILj256ELj64ELj32ELN6hipcub17WarpLoadAlgorithmE2EiEvPT3_S3_.num_agpr, 0
	.set _Z16warp_load_kernelILj256ELj64ELj32ELN6hipcub17WarpLoadAlgorithmE2EiEvPT3_S3_.numbered_sgpr, 5
	.set _Z16warp_load_kernelILj256ELj64ELj32ELN6hipcub17WarpLoadAlgorithmE2EiEvPT3_S3_.num_named_barrier, 0
	.set _Z16warp_load_kernelILj256ELj64ELj32ELN6hipcub17WarpLoadAlgorithmE2EiEvPT3_S3_.private_seg_size, 0
	.set _Z16warp_load_kernelILj256ELj64ELj32ELN6hipcub17WarpLoadAlgorithmE2EiEvPT3_S3_.uses_vcc, 1
	.set _Z16warp_load_kernelILj256ELj64ELj32ELN6hipcub17WarpLoadAlgorithmE2EiEvPT3_S3_.uses_flat_scratch, 0
	.set _Z16warp_load_kernelILj256ELj64ELj32ELN6hipcub17WarpLoadAlgorithmE2EiEvPT3_S3_.has_dyn_sized_stack, 0
	.set _Z16warp_load_kernelILj256ELj64ELj32ELN6hipcub17WarpLoadAlgorithmE2EiEvPT3_S3_.has_recursion, 0
	.set _Z16warp_load_kernelILj256ELj64ELj32ELN6hipcub17WarpLoadAlgorithmE2EiEvPT3_S3_.has_indirect_call, 0
	.section	.AMDGPU.csdata,"",@progbits
; Kernel info:
; codeLenInByte = 1332
; TotalNumSgprs: 7
; NumVgprs: 73
; ScratchSize: 0
; MemoryBound: 1
; FloatMode: 240
; IeeeMode: 1
; LDSByteSize: 0 bytes/workgroup (compile time only)
; SGPRBlocks: 0
; VGPRBlocks: 9
; NumSGPRsForWavesPerEU: 7
; NumVGPRsForWavesPerEU: 73
; Occupancy: 16
; WaveLimiterHint : 1
; COMPUTE_PGM_RSRC2:SCRATCH_EN: 0
; COMPUTE_PGM_RSRC2:USER_SGPR: 2
; COMPUTE_PGM_RSRC2:TRAP_HANDLER: 0
; COMPUTE_PGM_RSRC2:TGID_X_EN: 1
; COMPUTE_PGM_RSRC2:TGID_Y_EN: 0
; COMPUTE_PGM_RSRC2:TGID_Z_EN: 0
; COMPUTE_PGM_RSRC2:TIDIG_COMP_CNT: 0
	.section	.text._Z16warp_load_kernelILj256ELj4ELj32ELN6hipcub17WarpLoadAlgorithmE0EdEvPT3_S3_,"axG",@progbits,_Z16warp_load_kernelILj256ELj4ELj32ELN6hipcub17WarpLoadAlgorithmE0EdEvPT3_S3_,comdat
	.protected	_Z16warp_load_kernelILj256ELj4ELj32ELN6hipcub17WarpLoadAlgorithmE0EdEvPT3_S3_ ; -- Begin function _Z16warp_load_kernelILj256ELj4ELj32ELN6hipcub17WarpLoadAlgorithmE0EdEvPT3_S3_
	.globl	_Z16warp_load_kernelILj256ELj4ELj32ELN6hipcub17WarpLoadAlgorithmE0EdEvPT3_S3_
	.p2align	8
	.type	_Z16warp_load_kernelILj256ELj4ELj32ELN6hipcub17WarpLoadAlgorithmE0EdEvPT3_S3_,@function
_Z16warp_load_kernelILj256ELj4ELj32ELN6hipcub17WarpLoadAlgorithmE0EdEvPT3_S3_: ; @_Z16warp_load_kernelILj256ELj4ELj32ELN6hipcub17WarpLoadAlgorithmE0EdEvPT3_S3_
; %bb.0:
	s_load_b128 s[0:3], s[0:1], 0x0
	v_dual_mov_b32 v10, 0 :: v_dual_lshlrev_b32 v1, 2, v0
	s_lshl_b32 s4, ttmp9, 10
	v_mbcnt_lo_u32_b32 v3, -1, 0
	s_delay_alu instid0(VALU_DEP_2) | instskip(NEXT) | instid1(VALU_DEP_3)
	v_and_or_b32 v9, 0x380, v1, s4
	v_mov_b32_e32 v12, v10
	s_delay_alu instid0(VALU_DEP_3) | instskip(NEXT) | instid1(VALU_DEP_3)
	v_dual_mov_b32 v14, v10 :: v_dual_lshlrev_b32 v3, 5, v3
	v_lshlrev_b64_e32 v[1:2], 3, v[9:10]
	v_or_b32_e32 v9, s4, v0
	s_delay_alu instid0(VALU_DEP_1) | instskip(SKIP_4) | instid1(VALU_DEP_1)
	v_or_b32_e32 v11, 0x100, v9
	v_or_b32_e32 v13, 0x200, v9
	v_lshlrev_b64_e32 v[15:16], 3, v[9:10]
	s_wait_kmcnt 0x0
	v_add_co_u32 v1, vcc_lo, s0, v1
	v_add_co_ci_u32_e64 v2, null, s1, v2, vcc_lo
	v_or_b32_e32 v9, 0x300, v9
	s_delay_alu instid0(VALU_DEP_3) | instskip(SKIP_1) | instid1(VALU_DEP_3)
	v_add_co_u32 v5, vcc_lo, v1, v3
	s_wait_alu 0xfffd
	v_add_co_ci_u32_e64 v6, null, 0, v2, vcc_lo
	v_lshlrev_b64_e32 v[11:12], 3, v[11:12]
	v_lshlrev_b64_e32 v[13:14], 3, v[13:14]
	;; [unrolled: 1-line block ×3, first 2 shown]
	s_clause 0x1
	global_load_b128 v[1:4], v[5:6], off
	global_load_b128 v[5:8], v[5:6], off offset:16
	v_add_co_u32 v15, vcc_lo, s2, v15
	s_wait_alu 0xfffd
	v_add_co_ci_u32_e64 v16, null, s3, v16, vcc_lo
	v_add_co_u32 v11, vcc_lo, s2, v11
	s_wait_alu 0xfffd
	v_add_co_ci_u32_e64 v12, null, s3, v12, vcc_lo
	;; [unrolled: 3-line block ×4, first 2 shown]
	s_wait_loadcnt 0x1
	s_clause 0x1
	global_store_b64 v[15:16], v[1:2], off
	global_store_b64 v[11:12], v[3:4], off
	s_wait_loadcnt 0x0
	s_clause 0x1
	global_store_b64 v[13:14], v[5:6], off
	global_store_b64 v[9:10], v[7:8], off
	s_endpgm
	.section	.rodata,"a",@progbits
	.p2align	6, 0x0
	.amdhsa_kernel _Z16warp_load_kernelILj256ELj4ELj32ELN6hipcub17WarpLoadAlgorithmE0EdEvPT3_S3_
		.amdhsa_group_segment_fixed_size 0
		.amdhsa_private_segment_fixed_size 0
		.amdhsa_kernarg_size 16
		.amdhsa_user_sgpr_count 2
		.amdhsa_user_sgpr_dispatch_ptr 0
		.amdhsa_user_sgpr_queue_ptr 0
		.amdhsa_user_sgpr_kernarg_segment_ptr 1
		.amdhsa_user_sgpr_dispatch_id 0
		.amdhsa_user_sgpr_private_segment_size 0
		.amdhsa_wavefront_size32 1
		.amdhsa_uses_dynamic_stack 0
		.amdhsa_enable_private_segment 0
		.amdhsa_system_sgpr_workgroup_id_x 1
		.amdhsa_system_sgpr_workgroup_id_y 0
		.amdhsa_system_sgpr_workgroup_id_z 0
		.amdhsa_system_sgpr_workgroup_info 0
		.amdhsa_system_vgpr_workitem_id 0
		.amdhsa_next_free_vgpr 17
		.amdhsa_next_free_sgpr 5
		.amdhsa_reserve_vcc 1
		.amdhsa_float_round_mode_32 0
		.amdhsa_float_round_mode_16_64 0
		.amdhsa_float_denorm_mode_32 3
		.amdhsa_float_denorm_mode_16_64 3
		.amdhsa_fp16_overflow 0
		.amdhsa_workgroup_processor_mode 1
		.amdhsa_memory_ordered 1
		.amdhsa_forward_progress 1
		.amdhsa_inst_pref_size 3
		.amdhsa_round_robin_scheduling 0
		.amdhsa_exception_fp_ieee_invalid_op 0
		.amdhsa_exception_fp_denorm_src 0
		.amdhsa_exception_fp_ieee_div_zero 0
		.amdhsa_exception_fp_ieee_overflow 0
		.amdhsa_exception_fp_ieee_underflow 0
		.amdhsa_exception_fp_ieee_inexact 0
		.amdhsa_exception_int_div_zero 0
	.end_amdhsa_kernel
	.section	.text._Z16warp_load_kernelILj256ELj4ELj32ELN6hipcub17WarpLoadAlgorithmE0EdEvPT3_S3_,"axG",@progbits,_Z16warp_load_kernelILj256ELj4ELj32ELN6hipcub17WarpLoadAlgorithmE0EdEvPT3_S3_,comdat
.Lfunc_end19:
	.size	_Z16warp_load_kernelILj256ELj4ELj32ELN6hipcub17WarpLoadAlgorithmE0EdEvPT3_S3_, .Lfunc_end19-_Z16warp_load_kernelILj256ELj4ELj32ELN6hipcub17WarpLoadAlgorithmE0EdEvPT3_S3_
                                        ; -- End function
	.set _Z16warp_load_kernelILj256ELj4ELj32ELN6hipcub17WarpLoadAlgorithmE0EdEvPT3_S3_.num_vgpr, 17
	.set _Z16warp_load_kernelILj256ELj4ELj32ELN6hipcub17WarpLoadAlgorithmE0EdEvPT3_S3_.num_agpr, 0
	.set _Z16warp_load_kernelILj256ELj4ELj32ELN6hipcub17WarpLoadAlgorithmE0EdEvPT3_S3_.numbered_sgpr, 5
	.set _Z16warp_load_kernelILj256ELj4ELj32ELN6hipcub17WarpLoadAlgorithmE0EdEvPT3_S3_.num_named_barrier, 0
	.set _Z16warp_load_kernelILj256ELj4ELj32ELN6hipcub17WarpLoadAlgorithmE0EdEvPT3_S3_.private_seg_size, 0
	.set _Z16warp_load_kernelILj256ELj4ELj32ELN6hipcub17WarpLoadAlgorithmE0EdEvPT3_S3_.uses_vcc, 1
	.set _Z16warp_load_kernelILj256ELj4ELj32ELN6hipcub17WarpLoadAlgorithmE0EdEvPT3_S3_.uses_flat_scratch, 0
	.set _Z16warp_load_kernelILj256ELj4ELj32ELN6hipcub17WarpLoadAlgorithmE0EdEvPT3_S3_.has_dyn_sized_stack, 0
	.set _Z16warp_load_kernelILj256ELj4ELj32ELN6hipcub17WarpLoadAlgorithmE0EdEvPT3_S3_.has_recursion, 0
	.set _Z16warp_load_kernelILj256ELj4ELj32ELN6hipcub17WarpLoadAlgorithmE0EdEvPT3_S3_.has_indirect_call, 0
	.section	.AMDGPU.csdata,"",@progbits
; Kernel info:
; codeLenInByte = 332
; TotalNumSgprs: 7
; NumVgprs: 17
; ScratchSize: 0
; MemoryBound: 0
; FloatMode: 240
; IeeeMode: 1
; LDSByteSize: 0 bytes/workgroup (compile time only)
; SGPRBlocks: 0
; VGPRBlocks: 2
; NumSGPRsForWavesPerEU: 7
; NumVGPRsForWavesPerEU: 17
; Occupancy: 16
; WaveLimiterHint : 0
; COMPUTE_PGM_RSRC2:SCRATCH_EN: 0
; COMPUTE_PGM_RSRC2:USER_SGPR: 2
; COMPUTE_PGM_RSRC2:TRAP_HANDLER: 0
; COMPUTE_PGM_RSRC2:TGID_X_EN: 1
; COMPUTE_PGM_RSRC2:TGID_Y_EN: 0
; COMPUTE_PGM_RSRC2:TGID_Z_EN: 0
; COMPUTE_PGM_RSRC2:TIDIG_COMP_CNT: 0
	.section	.text._Z16warp_load_kernelILj256ELj4ELj32ELN6hipcub17WarpLoadAlgorithmE1EdEvPT3_S3_,"axG",@progbits,_Z16warp_load_kernelILj256ELj4ELj32ELN6hipcub17WarpLoadAlgorithmE1EdEvPT3_S3_,comdat
	.protected	_Z16warp_load_kernelILj256ELj4ELj32ELN6hipcub17WarpLoadAlgorithmE1EdEvPT3_S3_ ; -- Begin function _Z16warp_load_kernelILj256ELj4ELj32ELN6hipcub17WarpLoadAlgorithmE1EdEvPT3_S3_
	.globl	_Z16warp_load_kernelILj256ELj4ELj32ELN6hipcub17WarpLoadAlgorithmE1EdEvPT3_S3_
	.p2align	8
	.type	_Z16warp_load_kernelILj256ELj4ELj32ELN6hipcub17WarpLoadAlgorithmE1EdEvPT3_S3_,@function
_Z16warp_load_kernelILj256ELj4ELj32ELN6hipcub17WarpLoadAlgorithmE1EdEvPT3_S3_: ; @_Z16warp_load_kernelILj256ELj4ELj32ELN6hipcub17WarpLoadAlgorithmE1EdEvPT3_S3_
; %bb.0:
	s_load_b128 s[0:3], s[0:1], 0x0
	v_dual_mov_b32 v2, 0 :: v_dual_lshlrev_b32 v1, 2, v0
	s_lshl_b32 s4, ttmp9, 10
	v_mbcnt_lo_u32_b32 v5, -1, 0
	s_delay_alu instid0(VALU_DEP_2) | instskip(NEXT) | instid1(VALU_DEP_3)
	v_and_or_b32 v1, 0x380, v1, s4
	v_mov_b32_e32 v14, v2
	v_mov_b32_e32 v12, v2
	s_delay_alu instid0(VALU_DEP_3) | instskip(SKIP_2) | instid1(VALU_DEP_2)
	v_lshlrev_b64_e32 v[3:4], 3, v[1:2]
	v_lshlrev_b32_e32 v1, 3, v5
	s_wait_kmcnt 0x0
	v_add_co_u32 v3, vcc_lo, s0, v3
	s_delay_alu instid0(VALU_DEP_1) | instskip(NEXT) | instid1(VALU_DEP_2)
	v_add_co_ci_u32_e64 v4, null, s1, v4, vcc_lo
	v_add_co_u32 v3, vcc_lo, v3, v1
	s_wait_alu 0xfffd
	s_delay_alu instid0(VALU_DEP_2)
	v_add_co_ci_u32_e64 v4, null, 0, v4, vcc_lo
	v_or_b32_e32 v1, s4, v0
	s_clause 0x3
	global_load_b64 v[5:6], v[3:4], off
	global_load_b64 v[7:8], v[3:4], off offset:256
	global_load_b64 v[9:10], v[3:4], off offset:512
	;; [unrolled: 1-line block ×3, first 2 shown]
	v_or_b32_e32 v11, 0x100, v1
	v_or_b32_e32 v13, 0x200, v1
	v_lshlrev_b64_e32 v[15:16], 3, v[1:2]
	v_or_b32_e32 v1, 0x300, v1
	s_delay_alu instid0(VALU_DEP_4) | instskip(NEXT) | instid1(VALU_DEP_4)
	v_lshlrev_b64_e32 v[11:12], 3, v[11:12]
	v_lshlrev_b64_e32 v[13:14], 3, v[13:14]
	s_delay_alu instid0(VALU_DEP_3)
	v_lshlrev_b64_e32 v[0:1], 3, v[1:2]
	v_add_co_u32 v15, vcc_lo, s2, v15
	s_wait_alu 0xfffd
	v_add_co_ci_u32_e64 v16, null, s3, v16, vcc_lo
	v_add_co_u32 v11, vcc_lo, s2, v11
	s_wait_alu 0xfffd
	v_add_co_ci_u32_e64 v12, null, s3, v12, vcc_lo
	;; [unrolled: 3-line block ×4, first 2 shown]
	s_wait_loadcnt 0x3
	global_store_b64 v[15:16], v[5:6], off
	s_wait_loadcnt 0x2
	global_store_b64 v[11:12], v[7:8], off
	s_wait_loadcnt 0x1
	global_store_b64 v[13:14], v[9:10], off
	s_wait_loadcnt 0x0
	global_store_b64 v[0:1], v[3:4], off
	s_endpgm
	.section	.rodata,"a",@progbits
	.p2align	6, 0x0
	.amdhsa_kernel _Z16warp_load_kernelILj256ELj4ELj32ELN6hipcub17WarpLoadAlgorithmE1EdEvPT3_S3_
		.amdhsa_group_segment_fixed_size 0
		.amdhsa_private_segment_fixed_size 0
		.amdhsa_kernarg_size 16
		.amdhsa_user_sgpr_count 2
		.amdhsa_user_sgpr_dispatch_ptr 0
		.amdhsa_user_sgpr_queue_ptr 0
		.amdhsa_user_sgpr_kernarg_segment_ptr 1
		.amdhsa_user_sgpr_dispatch_id 0
		.amdhsa_user_sgpr_private_segment_size 0
		.amdhsa_wavefront_size32 1
		.amdhsa_uses_dynamic_stack 0
		.amdhsa_enable_private_segment 0
		.amdhsa_system_sgpr_workgroup_id_x 1
		.amdhsa_system_sgpr_workgroup_id_y 0
		.amdhsa_system_sgpr_workgroup_id_z 0
		.amdhsa_system_sgpr_workgroup_info 0
		.amdhsa_system_vgpr_workitem_id 0
		.amdhsa_next_free_vgpr 17
		.amdhsa_next_free_sgpr 5
		.amdhsa_reserve_vcc 1
		.amdhsa_float_round_mode_32 0
		.amdhsa_float_round_mode_16_64 0
		.amdhsa_float_denorm_mode_32 3
		.amdhsa_float_denorm_mode_16_64 3
		.amdhsa_fp16_overflow 0
		.amdhsa_workgroup_processor_mode 1
		.amdhsa_memory_ordered 1
		.amdhsa_forward_progress 1
		.amdhsa_inst_pref_size 3
		.amdhsa_round_robin_scheduling 0
		.amdhsa_exception_fp_ieee_invalid_op 0
		.amdhsa_exception_fp_denorm_src 0
		.amdhsa_exception_fp_ieee_div_zero 0
		.amdhsa_exception_fp_ieee_overflow 0
		.amdhsa_exception_fp_ieee_underflow 0
		.amdhsa_exception_fp_ieee_inexact 0
		.amdhsa_exception_int_div_zero 0
	.end_amdhsa_kernel
	.section	.text._Z16warp_load_kernelILj256ELj4ELj32ELN6hipcub17WarpLoadAlgorithmE1EdEvPT3_S3_,"axG",@progbits,_Z16warp_load_kernelILj256ELj4ELj32ELN6hipcub17WarpLoadAlgorithmE1EdEvPT3_S3_,comdat
.Lfunc_end20:
	.size	_Z16warp_load_kernelILj256ELj4ELj32ELN6hipcub17WarpLoadAlgorithmE1EdEvPT3_S3_, .Lfunc_end20-_Z16warp_load_kernelILj256ELj4ELj32ELN6hipcub17WarpLoadAlgorithmE1EdEvPT3_S3_
                                        ; -- End function
	.set _Z16warp_load_kernelILj256ELj4ELj32ELN6hipcub17WarpLoadAlgorithmE1EdEvPT3_S3_.num_vgpr, 17
	.set _Z16warp_load_kernelILj256ELj4ELj32ELN6hipcub17WarpLoadAlgorithmE1EdEvPT3_S3_.num_agpr, 0
	.set _Z16warp_load_kernelILj256ELj4ELj32ELN6hipcub17WarpLoadAlgorithmE1EdEvPT3_S3_.numbered_sgpr, 5
	.set _Z16warp_load_kernelILj256ELj4ELj32ELN6hipcub17WarpLoadAlgorithmE1EdEvPT3_S3_.num_named_barrier, 0
	.set _Z16warp_load_kernelILj256ELj4ELj32ELN6hipcub17WarpLoadAlgorithmE1EdEvPT3_S3_.private_seg_size, 0
	.set _Z16warp_load_kernelILj256ELj4ELj32ELN6hipcub17WarpLoadAlgorithmE1EdEvPT3_S3_.uses_vcc, 1
	.set _Z16warp_load_kernelILj256ELj4ELj32ELN6hipcub17WarpLoadAlgorithmE1EdEvPT3_S3_.uses_flat_scratch, 0
	.set _Z16warp_load_kernelILj256ELj4ELj32ELN6hipcub17WarpLoadAlgorithmE1EdEvPT3_S3_.has_dyn_sized_stack, 0
	.set _Z16warp_load_kernelILj256ELj4ELj32ELN6hipcub17WarpLoadAlgorithmE1EdEvPT3_S3_.has_recursion, 0
	.set _Z16warp_load_kernelILj256ELj4ELj32ELN6hipcub17WarpLoadAlgorithmE1EdEvPT3_S3_.has_indirect_call, 0
	.section	.AMDGPU.csdata,"",@progbits
; Kernel info:
; codeLenInByte = 364
; TotalNumSgprs: 7
; NumVgprs: 17
; ScratchSize: 0
; MemoryBound: 0
; FloatMode: 240
; IeeeMode: 1
; LDSByteSize: 0 bytes/workgroup (compile time only)
; SGPRBlocks: 0
; VGPRBlocks: 2
; NumSGPRsForWavesPerEU: 7
; NumVGPRsForWavesPerEU: 17
; Occupancy: 16
; WaveLimiterHint : 1
; COMPUTE_PGM_RSRC2:SCRATCH_EN: 0
; COMPUTE_PGM_RSRC2:USER_SGPR: 2
; COMPUTE_PGM_RSRC2:TRAP_HANDLER: 0
; COMPUTE_PGM_RSRC2:TGID_X_EN: 1
; COMPUTE_PGM_RSRC2:TGID_Y_EN: 0
; COMPUTE_PGM_RSRC2:TGID_Z_EN: 0
; COMPUTE_PGM_RSRC2:TIDIG_COMP_CNT: 0
	.section	.text._Z16warp_load_kernelILj256ELj4ELj32ELN6hipcub17WarpLoadAlgorithmE2EdEvPT3_S3_,"axG",@progbits,_Z16warp_load_kernelILj256ELj4ELj32ELN6hipcub17WarpLoadAlgorithmE2EdEvPT3_S3_,comdat
	.protected	_Z16warp_load_kernelILj256ELj4ELj32ELN6hipcub17WarpLoadAlgorithmE2EdEvPT3_S3_ ; -- Begin function _Z16warp_load_kernelILj256ELj4ELj32ELN6hipcub17WarpLoadAlgorithmE2EdEvPT3_S3_
	.globl	_Z16warp_load_kernelILj256ELj4ELj32ELN6hipcub17WarpLoadAlgorithmE2EdEvPT3_S3_
	.p2align	8
	.type	_Z16warp_load_kernelILj256ELj4ELj32ELN6hipcub17WarpLoadAlgorithmE2EdEvPT3_S3_,@function
_Z16warp_load_kernelILj256ELj4ELj32ELN6hipcub17WarpLoadAlgorithmE2EdEvPT3_S3_: ; @_Z16warp_load_kernelILj256ELj4ELj32ELN6hipcub17WarpLoadAlgorithmE2EdEvPT3_S3_
; %bb.0:
	s_load_b128 s[0:3], s[0:1], 0x0
	v_dual_mov_b32 v10, 0 :: v_dual_lshlrev_b32 v1, 2, v0
	s_lshl_b32 s4, ttmp9, 10
	v_mbcnt_lo_u32_b32 v3, -1, 0
	s_delay_alu instid0(VALU_DEP_2) | instskip(NEXT) | instid1(VALU_DEP_3)
	v_and_or_b32 v9, 0x380, v1, s4
	v_mov_b32_e32 v12, v10
	s_delay_alu instid0(VALU_DEP_3) | instskip(NEXT) | instid1(VALU_DEP_3)
	v_dual_mov_b32 v14, v10 :: v_dual_lshlrev_b32 v3, 5, v3
	v_lshlrev_b64_e32 v[1:2], 3, v[9:10]
	v_or_b32_e32 v9, s4, v0
	s_delay_alu instid0(VALU_DEP_1) | instskip(SKIP_4) | instid1(VALU_DEP_1)
	v_or_b32_e32 v11, 0x100, v9
	v_or_b32_e32 v13, 0x200, v9
	v_lshlrev_b64_e32 v[15:16], 3, v[9:10]
	s_wait_kmcnt 0x0
	v_add_co_u32 v1, vcc_lo, s0, v1
	v_add_co_ci_u32_e64 v2, null, s1, v2, vcc_lo
	v_or_b32_e32 v9, 0x300, v9
	s_delay_alu instid0(VALU_DEP_3) | instskip(SKIP_1) | instid1(VALU_DEP_3)
	v_add_co_u32 v5, vcc_lo, v1, v3
	s_wait_alu 0xfffd
	v_add_co_ci_u32_e64 v6, null, 0, v2, vcc_lo
	v_lshlrev_b64_e32 v[11:12], 3, v[11:12]
	v_lshlrev_b64_e32 v[13:14], 3, v[13:14]
	;; [unrolled: 1-line block ×3, first 2 shown]
	s_clause 0x1
	global_load_b128 v[1:4], v[5:6], off
	global_load_b128 v[5:8], v[5:6], off offset:16
	v_add_co_u32 v15, vcc_lo, s2, v15
	s_wait_alu 0xfffd
	v_add_co_ci_u32_e64 v16, null, s3, v16, vcc_lo
	v_add_co_u32 v11, vcc_lo, s2, v11
	s_wait_alu 0xfffd
	v_add_co_ci_u32_e64 v12, null, s3, v12, vcc_lo
	;; [unrolled: 3-line block ×4, first 2 shown]
	s_wait_loadcnt 0x1
	s_clause 0x1
	global_store_b64 v[15:16], v[1:2], off
	global_store_b64 v[11:12], v[3:4], off
	s_wait_loadcnt 0x0
	s_clause 0x1
	global_store_b64 v[13:14], v[5:6], off
	global_store_b64 v[9:10], v[7:8], off
	s_endpgm
	.section	.rodata,"a",@progbits
	.p2align	6, 0x0
	.amdhsa_kernel _Z16warp_load_kernelILj256ELj4ELj32ELN6hipcub17WarpLoadAlgorithmE2EdEvPT3_S3_
		.amdhsa_group_segment_fixed_size 0
		.amdhsa_private_segment_fixed_size 0
		.amdhsa_kernarg_size 16
		.amdhsa_user_sgpr_count 2
		.amdhsa_user_sgpr_dispatch_ptr 0
		.amdhsa_user_sgpr_queue_ptr 0
		.amdhsa_user_sgpr_kernarg_segment_ptr 1
		.amdhsa_user_sgpr_dispatch_id 0
		.amdhsa_user_sgpr_private_segment_size 0
		.amdhsa_wavefront_size32 1
		.amdhsa_uses_dynamic_stack 0
		.amdhsa_enable_private_segment 0
		.amdhsa_system_sgpr_workgroup_id_x 1
		.amdhsa_system_sgpr_workgroup_id_y 0
		.amdhsa_system_sgpr_workgroup_id_z 0
		.amdhsa_system_sgpr_workgroup_info 0
		.amdhsa_system_vgpr_workitem_id 0
		.amdhsa_next_free_vgpr 17
		.amdhsa_next_free_sgpr 5
		.amdhsa_reserve_vcc 1
		.amdhsa_float_round_mode_32 0
		.amdhsa_float_round_mode_16_64 0
		.amdhsa_float_denorm_mode_32 3
		.amdhsa_float_denorm_mode_16_64 3
		.amdhsa_fp16_overflow 0
		.amdhsa_workgroup_processor_mode 1
		.amdhsa_memory_ordered 1
		.amdhsa_forward_progress 1
		.amdhsa_inst_pref_size 3
		.amdhsa_round_robin_scheduling 0
		.amdhsa_exception_fp_ieee_invalid_op 0
		.amdhsa_exception_fp_denorm_src 0
		.amdhsa_exception_fp_ieee_div_zero 0
		.amdhsa_exception_fp_ieee_overflow 0
		.amdhsa_exception_fp_ieee_underflow 0
		.amdhsa_exception_fp_ieee_inexact 0
		.amdhsa_exception_int_div_zero 0
	.end_amdhsa_kernel
	.section	.text._Z16warp_load_kernelILj256ELj4ELj32ELN6hipcub17WarpLoadAlgorithmE2EdEvPT3_S3_,"axG",@progbits,_Z16warp_load_kernelILj256ELj4ELj32ELN6hipcub17WarpLoadAlgorithmE2EdEvPT3_S3_,comdat
.Lfunc_end21:
	.size	_Z16warp_load_kernelILj256ELj4ELj32ELN6hipcub17WarpLoadAlgorithmE2EdEvPT3_S3_, .Lfunc_end21-_Z16warp_load_kernelILj256ELj4ELj32ELN6hipcub17WarpLoadAlgorithmE2EdEvPT3_S3_
                                        ; -- End function
	.set _Z16warp_load_kernelILj256ELj4ELj32ELN6hipcub17WarpLoadAlgorithmE2EdEvPT3_S3_.num_vgpr, 17
	.set _Z16warp_load_kernelILj256ELj4ELj32ELN6hipcub17WarpLoadAlgorithmE2EdEvPT3_S3_.num_agpr, 0
	.set _Z16warp_load_kernelILj256ELj4ELj32ELN6hipcub17WarpLoadAlgorithmE2EdEvPT3_S3_.numbered_sgpr, 5
	.set _Z16warp_load_kernelILj256ELj4ELj32ELN6hipcub17WarpLoadAlgorithmE2EdEvPT3_S3_.num_named_barrier, 0
	.set _Z16warp_load_kernelILj256ELj4ELj32ELN6hipcub17WarpLoadAlgorithmE2EdEvPT3_S3_.private_seg_size, 0
	.set _Z16warp_load_kernelILj256ELj4ELj32ELN6hipcub17WarpLoadAlgorithmE2EdEvPT3_S3_.uses_vcc, 1
	.set _Z16warp_load_kernelILj256ELj4ELj32ELN6hipcub17WarpLoadAlgorithmE2EdEvPT3_S3_.uses_flat_scratch, 0
	.set _Z16warp_load_kernelILj256ELj4ELj32ELN6hipcub17WarpLoadAlgorithmE2EdEvPT3_S3_.has_dyn_sized_stack, 0
	.set _Z16warp_load_kernelILj256ELj4ELj32ELN6hipcub17WarpLoadAlgorithmE2EdEvPT3_S3_.has_recursion, 0
	.set _Z16warp_load_kernelILj256ELj4ELj32ELN6hipcub17WarpLoadAlgorithmE2EdEvPT3_S3_.has_indirect_call, 0
	.section	.AMDGPU.csdata,"",@progbits
; Kernel info:
; codeLenInByte = 332
; TotalNumSgprs: 7
; NumVgprs: 17
; ScratchSize: 0
; MemoryBound: 0
; FloatMode: 240
; IeeeMode: 1
; LDSByteSize: 0 bytes/workgroup (compile time only)
; SGPRBlocks: 0
; VGPRBlocks: 2
; NumSGPRsForWavesPerEU: 7
; NumVGPRsForWavesPerEU: 17
; Occupancy: 16
; WaveLimiterHint : 0
; COMPUTE_PGM_RSRC2:SCRATCH_EN: 0
; COMPUTE_PGM_RSRC2:USER_SGPR: 2
; COMPUTE_PGM_RSRC2:TRAP_HANDLER: 0
; COMPUTE_PGM_RSRC2:TGID_X_EN: 1
; COMPUTE_PGM_RSRC2:TGID_Y_EN: 0
; COMPUTE_PGM_RSRC2:TGID_Z_EN: 0
; COMPUTE_PGM_RSRC2:TIDIG_COMP_CNT: 0
	.section	.text._Z16warp_load_kernelILj256ELj4ELj32ELN6hipcub17WarpLoadAlgorithmE3EdEvPT3_S3_,"axG",@progbits,_Z16warp_load_kernelILj256ELj4ELj32ELN6hipcub17WarpLoadAlgorithmE3EdEvPT3_S3_,comdat
	.protected	_Z16warp_load_kernelILj256ELj4ELj32ELN6hipcub17WarpLoadAlgorithmE3EdEvPT3_S3_ ; -- Begin function _Z16warp_load_kernelILj256ELj4ELj32ELN6hipcub17WarpLoadAlgorithmE3EdEvPT3_S3_
	.globl	_Z16warp_load_kernelILj256ELj4ELj32ELN6hipcub17WarpLoadAlgorithmE3EdEvPT3_S3_
	.p2align	8
	.type	_Z16warp_load_kernelILj256ELj4ELj32ELN6hipcub17WarpLoadAlgorithmE3EdEvPT3_S3_,@function
_Z16warp_load_kernelILj256ELj4ELj32ELN6hipcub17WarpLoadAlgorithmE3EdEvPT3_S3_: ; @_Z16warp_load_kernelILj256ELj4ELj32ELN6hipcub17WarpLoadAlgorithmE3EdEvPT3_S3_
; %bb.0:
	s_load_b128 s[0:3], s[0:1], 0x0
	v_lshrrev_b32_e32 v3, 5, v0
	s_lshl_b32 s4, ttmp9, 10
	v_mbcnt_lo_u32_b32 v16, -1, 0
	v_mov_b32_e32 v5, 0
	s_delay_alu instid0(VALU_DEP_3) | instskip(SKIP_1) | instid1(VALU_DEP_3)
	v_lshl_or_b32 v4, v3, 7, s4
	v_lshlrev_b32_e32 v3, 10, v3
	v_dual_mov_b32 v13, v5 :: v_dual_lshlrev_b32 v12, 3, v16
	v_mov_b32_e32 v15, v5
	s_delay_alu instid0(VALU_DEP_4) | instskip(SKIP_1) | instid1(VALU_DEP_4)
	v_lshlrev_b64_e32 v[1:2], 3, v[4:5]
	v_or_b32_e32 v4, s4, v0
	v_or_b32_e32 v0, v3, v12
	v_lshl_or_b32 v18, v16, 5, v3
	s_delay_alu instid0(VALU_DEP_3) | instskip(SKIP_3) | instid1(VALU_DEP_1)
	v_or_b32_e32 v14, 0x200, v4
	v_lshlrev_b64_e32 v[16:17], 3, v[4:5]
	s_wait_kmcnt 0x0
	v_add_co_u32 v1, vcc_lo, s0, v1
	v_add_co_ci_u32_e64 v2, null, s1, v2, vcc_lo
	v_lshlrev_b64_e32 v[14:15], 3, v[14:15]
	s_delay_alu instid0(VALU_DEP_3) | instskip(SKIP_1) | instid1(VALU_DEP_3)
	v_add_co_u32 v1, vcc_lo, v1, v12
	s_wait_alu 0xfffd
	v_add_co_ci_u32_e64 v2, null, 0, v2, vcc_lo
	v_or_b32_e32 v12, 0x100, v4
	v_or_b32_e32 v4, 0x300, v4
	s_clause 0x3
	global_load_b64 v[6:7], v[1:2], off
	global_load_b64 v[8:9], v[1:2], off offset:256
	global_load_b64 v[10:11], v[1:2], off offset:512
	;; [unrolled: 1-line block ×3, first 2 shown]
	s_wait_loadcnt 0x2
	ds_store_2addr_b64 v0, v[6:7], v[8:9] offset1:32
	s_wait_loadcnt 0x0
	ds_store_2addr_b64 v0, v[10:11], v[1:2] offset0:64 offset1:96
	; wave barrier
	ds_load_b128 v[0:3], v18
	v_lshlrev_b64_e32 v[8:9], 3, v[4:5]
	ds_load_b128 v[4:7], v18 offset:16
	v_lshlrev_b64_e32 v[12:13], 3, v[12:13]
	v_add_co_u32 v10, vcc_lo, s2, v16
	s_wait_alu 0xfffd
	v_add_co_ci_u32_e64 v11, null, s3, v17, vcc_lo
	s_delay_alu instid0(VALU_DEP_3)
	v_add_co_u32 v12, vcc_lo, s2, v12
	s_wait_alu 0xfffd
	v_add_co_ci_u32_e64 v13, null, s3, v13, vcc_lo
	v_add_co_u32 v14, vcc_lo, s2, v14
	s_wait_alu 0xfffd
	v_add_co_ci_u32_e64 v15, null, s3, v15, vcc_lo
	;; [unrolled: 3-line block ×3, first 2 shown]
	s_wait_dscnt 0x1
	s_clause 0x1
	global_store_b64 v[10:11], v[0:1], off
	global_store_b64 v[12:13], v[2:3], off
	s_wait_dscnt 0x0
	s_clause 0x1
	global_store_b64 v[14:15], v[4:5], off
	global_store_b64 v[8:9], v[6:7], off
	s_endpgm
	.section	.rodata,"a",@progbits
	.p2align	6, 0x0
	.amdhsa_kernel _Z16warp_load_kernelILj256ELj4ELj32ELN6hipcub17WarpLoadAlgorithmE3EdEvPT3_S3_
		.amdhsa_group_segment_fixed_size 8192
		.amdhsa_private_segment_fixed_size 0
		.amdhsa_kernarg_size 16
		.amdhsa_user_sgpr_count 2
		.amdhsa_user_sgpr_dispatch_ptr 0
		.amdhsa_user_sgpr_queue_ptr 0
		.amdhsa_user_sgpr_kernarg_segment_ptr 1
		.amdhsa_user_sgpr_dispatch_id 0
		.amdhsa_user_sgpr_private_segment_size 0
		.amdhsa_wavefront_size32 1
		.amdhsa_uses_dynamic_stack 0
		.amdhsa_enable_private_segment 0
		.amdhsa_system_sgpr_workgroup_id_x 1
		.amdhsa_system_sgpr_workgroup_id_y 0
		.amdhsa_system_sgpr_workgroup_id_z 0
		.amdhsa_system_sgpr_workgroup_info 0
		.amdhsa_system_vgpr_workitem_id 0
		.amdhsa_next_free_vgpr 19
		.amdhsa_next_free_sgpr 5
		.amdhsa_reserve_vcc 1
		.amdhsa_float_round_mode_32 0
		.amdhsa_float_round_mode_16_64 0
		.amdhsa_float_denorm_mode_32 3
		.amdhsa_float_denorm_mode_16_64 3
		.amdhsa_fp16_overflow 0
		.amdhsa_workgroup_processor_mode 1
		.amdhsa_memory_ordered 1
		.amdhsa_forward_progress 1
		.amdhsa_inst_pref_size 4
		.amdhsa_round_robin_scheduling 0
		.amdhsa_exception_fp_ieee_invalid_op 0
		.amdhsa_exception_fp_denorm_src 0
		.amdhsa_exception_fp_ieee_div_zero 0
		.amdhsa_exception_fp_ieee_overflow 0
		.amdhsa_exception_fp_ieee_underflow 0
		.amdhsa_exception_fp_ieee_inexact 0
		.amdhsa_exception_int_div_zero 0
	.end_amdhsa_kernel
	.section	.text._Z16warp_load_kernelILj256ELj4ELj32ELN6hipcub17WarpLoadAlgorithmE3EdEvPT3_S3_,"axG",@progbits,_Z16warp_load_kernelILj256ELj4ELj32ELN6hipcub17WarpLoadAlgorithmE3EdEvPT3_S3_,comdat
.Lfunc_end22:
	.size	_Z16warp_load_kernelILj256ELj4ELj32ELN6hipcub17WarpLoadAlgorithmE3EdEvPT3_S3_, .Lfunc_end22-_Z16warp_load_kernelILj256ELj4ELj32ELN6hipcub17WarpLoadAlgorithmE3EdEvPT3_S3_
                                        ; -- End function
	.set _Z16warp_load_kernelILj256ELj4ELj32ELN6hipcub17WarpLoadAlgorithmE3EdEvPT3_S3_.num_vgpr, 19
	.set _Z16warp_load_kernelILj256ELj4ELj32ELN6hipcub17WarpLoadAlgorithmE3EdEvPT3_S3_.num_agpr, 0
	.set _Z16warp_load_kernelILj256ELj4ELj32ELN6hipcub17WarpLoadAlgorithmE3EdEvPT3_S3_.numbered_sgpr, 5
	.set _Z16warp_load_kernelILj256ELj4ELj32ELN6hipcub17WarpLoadAlgorithmE3EdEvPT3_S3_.num_named_barrier, 0
	.set _Z16warp_load_kernelILj256ELj4ELj32ELN6hipcub17WarpLoadAlgorithmE3EdEvPT3_S3_.private_seg_size, 0
	.set _Z16warp_load_kernelILj256ELj4ELj32ELN6hipcub17WarpLoadAlgorithmE3EdEvPT3_S3_.uses_vcc, 1
	.set _Z16warp_load_kernelILj256ELj4ELj32ELN6hipcub17WarpLoadAlgorithmE3EdEvPT3_S3_.uses_flat_scratch, 0
	.set _Z16warp_load_kernelILj256ELj4ELj32ELN6hipcub17WarpLoadAlgorithmE3EdEvPT3_S3_.has_dyn_sized_stack, 0
	.set _Z16warp_load_kernelILj256ELj4ELj32ELN6hipcub17WarpLoadAlgorithmE3EdEvPT3_S3_.has_recursion, 0
	.set _Z16warp_load_kernelILj256ELj4ELj32ELN6hipcub17WarpLoadAlgorithmE3EdEvPT3_S3_.has_indirect_call, 0
	.section	.AMDGPU.csdata,"",@progbits
; Kernel info:
; codeLenInByte = 412
; TotalNumSgprs: 7
; NumVgprs: 19
; ScratchSize: 0
; MemoryBound: 1
; FloatMode: 240
; IeeeMode: 1
; LDSByteSize: 8192 bytes/workgroup (compile time only)
; SGPRBlocks: 0
; VGPRBlocks: 2
; NumSGPRsForWavesPerEU: 7
; NumVGPRsForWavesPerEU: 19
; Occupancy: 16
; WaveLimiterHint : 1
; COMPUTE_PGM_RSRC2:SCRATCH_EN: 0
; COMPUTE_PGM_RSRC2:USER_SGPR: 2
; COMPUTE_PGM_RSRC2:TRAP_HANDLER: 0
; COMPUTE_PGM_RSRC2:TGID_X_EN: 1
; COMPUTE_PGM_RSRC2:TGID_Y_EN: 0
; COMPUTE_PGM_RSRC2:TGID_Z_EN: 0
; COMPUTE_PGM_RSRC2:TIDIG_COMP_CNT: 0
	.section	.text._Z16warp_load_kernelILj256ELj8ELj32ELN6hipcub17WarpLoadAlgorithmE0EdEvPT3_S3_,"axG",@progbits,_Z16warp_load_kernelILj256ELj8ELj32ELN6hipcub17WarpLoadAlgorithmE0EdEvPT3_S3_,comdat
	.protected	_Z16warp_load_kernelILj256ELj8ELj32ELN6hipcub17WarpLoadAlgorithmE0EdEvPT3_S3_ ; -- Begin function _Z16warp_load_kernelILj256ELj8ELj32ELN6hipcub17WarpLoadAlgorithmE0EdEvPT3_S3_
	.globl	_Z16warp_load_kernelILj256ELj8ELj32ELN6hipcub17WarpLoadAlgorithmE0EdEvPT3_S3_
	.p2align	8
	.type	_Z16warp_load_kernelILj256ELj8ELj32ELN6hipcub17WarpLoadAlgorithmE0EdEvPT3_S3_,@function
_Z16warp_load_kernelILj256ELj8ELj32ELN6hipcub17WarpLoadAlgorithmE0EdEvPT3_S3_: ; @_Z16warp_load_kernelILj256ELj8ELj32ELN6hipcub17WarpLoadAlgorithmE0EdEvPT3_S3_
; %bb.0:
	s_load_b128 s[0:3], s[0:1], 0x0
	v_dual_mov_b32 v18, 0 :: v_dual_lshlrev_b32 v1, 3, v0
	s_lshl_b32 s4, ttmp9, 11
	v_mbcnt_lo_u32_b32 v3, -1, 0
	s_delay_alu instid0(VALU_DEP_2) | instskip(NEXT) | instid1(VALU_DEP_3)
	v_and_or_b32 v17, 0x700, v1, s4
	v_mov_b32_e32 v20, v18
	s_delay_alu instid0(VALU_DEP_3) | instskip(NEXT) | instid1(VALU_DEP_3)
	v_dual_mov_b32 v22, v18 :: v_dual_lshlrev_b32 v3, 6, v3
	v_lshlrev_b64_e32 v[1:2], 3, v[17:18]
	v_or_b32_e32 v17, s4, v0
	s_delay_alu instid0(VALU_DEP_1) | instskip(SKIP_4) | instid1(VALU_DEP_1)
	v_or_b32_e32 v19, 0x500, v17
	v_or_b32_e32 v21, 0x600, v17
	v_lshlrev_b64_e32 v[23:24], 3, v[17:18]
	s_wait_kmcnt 0x0
	v_add_co_u32 v1, vcc_lo, s0, v1
	v_add_co_ci_u32_e64 v2, null, s1, v2, vcc_lo
	v_or_b32_e32 v17, 0x700, v17
	s_delay_alu instid0(VALU_DEP_3) | instskip(SKIP_1) | instid1(VALU_DEP_3)
	v_add_co_u32 v13, vcc_lo, v1, v3
	s_wait_alu 0xfffd
	v_add_co_ci_u32_e64 v14, null, 0, v2, vcc_lo
	v_lshlrev_b64_e32 v[19:20], 3, v[19:20]
	v_lshlrev_b64_e32 v[21:22], 3, v[21:22]
	;; [unrolled: 1-line block ×3, first 2 shown]
	s_clause 0x3
	global_load_b128 v[1:4], v[13:14], off
	global_load_b128 v[5:8], v[13:14], off offset:16
	global_load_b128 v[9:12], v[13:14], off offset:32
	;; [unrolled: 1-line block ×3, first 2 shown]
	v_add_co_u32 v23, vcc_lo, s2, v23
	s_wait_alu 0xfffd
	v_add_co_ci_u32_e64 v24, null, s3, v24, vcc_lo
	v_add_co_u32 v19, vcc_lo, s2, v19
	s_wait_alu 0xfffd
	v_add_co_ci_u32_e64 v20, null, s3, v20, vcc_lo
	;; [unrolled: 3-line block ×4, first 2 shown]
	s_wait_loadcnt 0x3
	s_clause 0x1
	global_store_b64 v[23:24], v[1:2], off
	global_store_b64 v[23:24], v[3:4], off offset:2048
	s_wait_loadcnt 0x2
	s_clause 0x1
	global_store_b64 v[23:24], v[5:6], off offset:4096
	global_store_b64 v[23:24], v[7:8], off offset:6144
	s_wait_loadcnt 0x1
	s_clause 0x1
	global_store_b64 v[23:24], v[9:10], off offset:8192
	global_store_b64 v[19:20], v[11:12], off
	s_wait_loadcnt 0x0
	s_clause 0x1
	global_store_b64 v[21:22], v[13:14], off
	global_store_b64 v[17:18], v[15:16], off
	s_endpgm
	.section	.rodata,"a",@progbits
	.p2align	6, 0x0
	.amdhsa_kernel _Z16warp_load_kernelILj256ELj8ELj32ELN6hipcub17WarpLoadAlgorithmE0EdEvPT3_S3_
		.amdhsa_group_segment_fixed_size 0
		.amdhsa_private_segment_fixed_size 0
		.amdhsa_kernarg_size 16
		.amdhsa_user_sgpr_count 2
		.amdhsa_user_sgpr_dispatch_ptr 0
		.amdhsa_user_sgpr_queue_ptr 0
		.amdhsa_user_sgpr_kernarg_segment_ptr 1
		.amdhsa_user_sgpr_dispatch_id 0
		.amdhsa_user_sgpr_private_segment_size 0
		.amdhsa_wavefront_size32 1
		.amdhsa_uses_dynamic_stack 0
		.amdhsa_enable_private_segment 0
		.amdhsa_system_sgpr_workgroup_id_x 1
		.amdhsa_system_sgpr_workgroup_id_y 0
		.amdhsa_system_sgpr_workgroup_id_z 0
		.amdhsa_system_sgpr_workgroup_info 0
		.amdhsa_system_vgpr_workitem_id 0
		.amdhsa_next_free_vgpr 25
		.amdhsa_next_free_sgpr 5
		.amdhsa_reserve_vcc 1
		.amdhsa_float_round_mode_32 0
		.amdhsa_float_round_mode_16_64 0
		.amdhsa_float_denorm_mode_32 3
		.amdhsa_float_denorm_mode_16_64 3
		.amdhsa_fp16_overflow 0
		.amdhsa_workgroup_processor_mode 1
		.amdhsa_memory_ordered 1
		.amdhsa_forward_progress 1
		.amdhsa_inst_pref_size 4
		.amdhsa_round_robin_scheduling 0
		.amdhsa_exception_fp_ieee_invalid_op 0
		.amdhsa_exception_fp_denorm_src 0
		.amdhsa_exception_fp_ieee_div_zero 0
		.amdhsa_exception_fp_ieee_overflow 0
		.amdhsa_exception_fp_ieee_underflow 0
		.amdhsa_exception_fp_ieee_inexact 0
		.amdhsa_exception_int_div_zero 0
	.end_amdhsa_kernel
	.section	.text._Z16warp_load_kernelILj256ELj8ELj32ELN6hipcub17WarpLoadAlgorithmE0EdEvPT3_S3_,"axG",@progbits,_Z16warp_load_kernelILj256ELj8ELj32ELN6hipcub17WarpLoadAlgorithmE0EdEvPT3_S3_,comdat
.Lfunc_end23:
	.size	_Z16warp_load_kernelILj256ELj8ELj32ELN6hipcub17WarpLoadAlgorithmE0EdEvPT3_S3_, .Lfunc_end23-_Z16warp_load_kernelILj256ELj8ELj32ELN6hipcub17WarpLoadAlgorithmE0EdEvPT3_S3_
                                        ; -- End function
	.set _Z16warp_load_kernelILj256ELj8ELj32ELN6hipcub17WarpLoadAlgorithmE0EdEvPT3_S3_.num_vgpr, 25
	.set _Z16warp_load_kernelILj256ELj8ELj32ELN6hipcub17WarpLoadAlgorithmE0EdEvPT3_S3_.num_agpr, 0
	.set _Z16warp_load_kernelILj256ELj8ELj32ELN6hipcub17WarpLoadAlgorithmE0EdEvPT3_S3_.numbered_sgpr, 5
	.set _Z16warp_load_kernelILj256ELj8ELj32ELN6hipcub17WarpLoadAlgorithmE0EdEvPT3_S3_.num_named_barrier, 0
	.set _Z16warp_load_kernelILj256ELj8ELj32ELN6hipcub17WarpLoadAlgorithmE0EdEvPT3_S3_.private_seg_size, 0
	.set _Z16warp_load_kernelILj256ELj8ELj32ELN6hipcub17WarpLoadAlgorithmE0EdEvPT3_S3_.uses_vcc, 1
	.set _Z16warp_load_kernelILj256ELj8ELj32ELN6hipcub17WarpLoadAlgorithmE0EdEvPT3_S3_.uses_flat_scratch, 0
	.set _Z16warp_load_kernelILj256ELj8ELj32ELN6hipcub17WarpLoadAlgorithmE0EdEvPT3_S3_.has_dyn_sized_stack, 0
	.set _Z16warp_load_kernelILj256ELj8ELj32ELN6hipcub17WarpLoadAlgorithmE0EdEvPT3_S3_.has_recursion, 0
	.set _Z16warp_load_kernelILj256ELj8ELj32ELN6hipcub17WarpLoadAlgorithmE0EdEvPT3_S3_.has_indirect_call, 0
	.section	.AMDGPU.csdata,"",@progbits
; Kernel info:
; codeLenInByte = 420
; TotalNumSgprs: 7
; NumVgprs: 25
; ScratchSize: 0
; MemoryBound: 1
; FloatMode: 240
; IeeeMode: 1
; LDSByteSize: 0 bytes/workgroup (compile time only)
; SGPRBlocks: 0
; VGPRBlocks: 3
; NumSGPRsForWavesPerEU: 7
; NumVGPRsForWavesPerEU: 25
; Occupancy: 16
; WaveLimiterHint : 1
; COMPUTE_PGM_RSRC2:SCRATCH_EN: 0
; COMPUTE_PGM_RSRC2:USER_SGPR: 2
; COMPUTE_PGM_RSRC2:TRAP_HANDLER: 0
; COMPUTE_PGM_RSRC2:TGID_X_EN: 1
; COMPUTE_PGM_RSRC2:TGID_Y_EN: 0
; COMPUTE_PGM_RSRC2:TGID_Z_EN: 0
; COMPUTE_PGM_RSRC2:TIDIG_COMP_CNT: 0
	.section	.text._Z16warp_load_kernelILj256ELj8ELj32ELN6hipcub17WarpLoadAlgorithmE1EdEvPT3_S3_,"axG",@progbits,_Z16warp_load_kernelILj256ELj8ELj32ELN6hipcub17WarpLoadAlgorithmE1EdEvPT3_S3_,comdat
	.protected	_Z16warp_load_kernelILj256ELj8ELj32ELN6hipcub17WarpLoadAlgorithmE1EdEvPT3_S3_ ; -- Begin function _Z16warp_load_kernelILj256ELj8ELj32ELN6hipcub17WarpLoadAlgorithmE1EdEvPT3_S3_
	.globl	_Z16warp_load_kernelILj256ELj8ELj32ELN6hipcub17WarpLoadAlgorithmE1EdEvPT3_S3_
	.p2align	8
	.type	_Z16warp_load_kernelILj256ELj8ELj32ELN6hipcub17WarpLoadAlgorithmE1EdEvPT3_S3_,@function
_Z16warp_load_kernelILj256ELj8ELj32ELN6hipcub17WarpLoadAlgorithmE1EdEvPT3_S3_: ; @_Z16warp_load_kernelILj256ELj8ELj32ELN6hipcub17WarpLoadAlgorithmE1EdEvPT3_S3_
; %bb.0:
	s_load_b128 s[0:3], s[0:1], 0x0
	v_dual_mov_b32 v2, 0 :: v_dual_lshlrev_b32 v1, 3, v0
	s_lshl_b32 s4, ttmp9, 11
	v_mbcnt_lo_u32_b32 v5, -1, 0
	s_delay_alu instid0(VALU_DEP_2) | instskip(NEXT) | instid1(VALU_DEP_3)
	v_and_or_b32 v1, 0x700, v1, s4
	v_mov_b32_e32 v22, v2
	v_mov_b32_e32 v20, v2
	s_delay_alu instid0(VALU_DEP_3) | instskip(SKIP_2) | instid1(VALU_DEP_2)
	v_lshlrev_b64_e32 v[3:4], 3, v[1:2]
	v_lshlrev_b32_e32 v1, 3, v5
	s_wait_kmcnt 0x0
	v_add_co_u32 v3, vcc_lo, s0, v3
	s_delay_alu instid0(VALU_DEP_1) | instskip(NEXT) | instid1(VALU_DEP_2)
	v_add_co_ci_u32_e64 v4, null, s1, v4, vcc_lo
	v_add_co_u32 v3, vcc_lo, v3, v1
	s_wait_alu 0xfffd
	s_delay_alu instid0(VALU_DEP_2)
	v_add_co_ci_u32_e64 v4, null, 0, v4, vcc_lo
	v_or_b32_e32 v1, s4, v0
	s_clause 0x7
	global_load_b64 v[5:6], v[3:4], off
	global_load_b64 v[7:8], v[3:4], off offset:256
	global_load_b64 v[9:10], v[3:4], off offset:512
	;; [unrolled: 1-line block ×7, first 2 shown]
	v_or_b32_e32 v19, 0x500, v1
	v_or_b32_e32 v21, 0x600, v1
	v_lshlrev_b64_e32 v[23:24], 3, v[1:2]
	v_or_b32_e32 v1, 0x700, v1
	s_delay_alu instid0(VALU_DEP_4) | instskip(NEXT) | instid1(VALU_DEP_4)
	v_lshlrev_b64_e32 v[19:20], 3, v[19:20]
	v_lshlrev_b64_e32 v[21:22], 3, v[21:22]
	s_delay_alu instid0(VALU_DEP_3)
	v_lshlrev_b64_e32 v[0:1], 3, v[1:2]
	v_add_co_u32 v23, vcc_lo, s2, v23
	s_wait_alu 0xfffd
	v_add_co_ci_u32_e64 v24, null, s3, v24, vcc_lo
	v_add_co_u32 v19, vcc_lo, s2, v19
	s_wait_alu 0xfffd
	v_add_co_ci_u32_e64 v20, null, s3, v20, vcc_lo
	;; [unrolled: 3-line block ×4, first 2 shown]
	s_wait_loadcnt 0x7
	global_store_b64 v[23:24], v[5:6], off
	s_wait_loadcnt 0x6
	global_store_b64 v[23:24], v[7:8], off offset:2048
	s_wait_loadcnt 0x5
	global_store_b64 v[23:24], v[9:10], off offset:4096
	;; [unrolled: 2-line block ×4, first 2 shown]
	s_wait_loadcnt 0x2
	global_store_b64 v[19:20], v[15:16], off
	s_wait_loadcnt 0x1
	global_store_b64 v[21:22], v[17:18], off
	;; [unrolled: 2-line block ×3, first 2 shown]
	s_endpgm
	.section	.rodata,"a",@progbits
	.p2align	6, 0x0
	.amdhsa_kernel _Z16warp_load_kernelILj256ELj8ELj32ELN6hipcub17WarpLoadAlgorithmE1EdEvPT3_S3_
		.amdhsa_group_segment_fixed_size 0
		.amdhsa_private_segment_fixed_size 0
		.amdhsa_kernarg_size 16
		.amdhsa_user_sgpr_count 2
		.amdhsa_user_sgpr_dispatch_ptr 0
		.amdhsa_user_sgpr_queue_ptr 0
		.amdhsa_user_sgpr_kernarg_segment_ptr 1
		.amdhsa_user_sgpr_dispatch_id 0
		.amdhsa_user_sgpr_private_segment_size 0
		.amdhsa_wavefront_size32 1
		.amdhsa_uses_dynamic_stack 0
		.amdhsa_enable_private_segment 0
		.amdhsa_system_sgpr_workgroup_id_x 1
		.amdhsa_system_sgpr_workgroup_id_y 0
		.amdhsa_system_sgpr_workgroup_id_z 0
		.amdhsa_system_sgpr_workgroup_info 0
		.amdhsa_system_vgpr_workitem_id 0
		.amdhsa_next_free_vgpr 25
		.amdhsa_next_free_sgpr 5
		.amdhsa_reserve_vcc 1
		.amdhsa_float_round_mode_32 0
		.amdhsa_float_round_mode_16_64 0
		.amdhsa_float_denorm_mode_32 3
		.amdhsa_float_denorm_mode_16_64 3
		.amdhsa_fp16_overflow 0
		.amdhsa_workgroup_processor_mode 1
		.amdhsa_memory_ordered 1
		.amdhsa_forward_progress 1
		.amdhsa_inst_pref_size 4
		.amdhsa_round_robin_scheduling 0
		.amdhsa_exception_fp_ieee_invalid_op 0
		.amdhsa_exception_fp_denorm_src 0
		.amdhsa_exception_fp_ieee_div_zero 0
		.amdhsa_exception_fp_ieee_overflow 0
		.amdhsa_exception_fp_ieee_underflow 0
		.amdhsa_exception_fp_ieee_inexact 0
		.amdhsa_exception_int_div_zero 0
	.end_amdhsa_kernel
	.section	.text._Z16warp_load_kernelILj256ELj8ELj32ELN6hipcub17WarpLoadAlgorithmE1EdEvPT3_S3_,"axG",@progbits,_Z16warp_load_kernelILj256ELj8ELj32ELN6hipcub17WarpLoadAlgorithmE1EdEvPT3_S3_,comdat
.Lfunc_end24:
	.size	_Z16warp_load_kernelILj256ELj8ELj32ELN6hipcub17WarpLoadAlgorithmE1EdEvPT3_S3_, .Lfunc_end24-_Z16warp_load_kernelILj256ELj8ELj32ELN6hipcub17WarpLoadAlgorithmE1EdEvPT3_S3_
                                        ; -- End function
	.set _Z16warp_load_kernelILj256ELj8ELj32ELN6hipcub17WarpLoadAlgorithmE1EdEvPT3_S3_.num_vgpr, 25
	.set _Z16warp_load_kernelILj256ELj8ELj32ELN6hipcub17WarpLoadAlgorithmE1EdEvPT3_S3_.num_agpr, 0
	.set _Z16warp_load_kernelILj256ELj8ELj32ELN6hipcub17WarpLoadAlgorithmE1EdEvPT3_S3_.numbered_sgpr, 5
	.set _Z16warp_load_kernelILj256ELj8ELj32ELN6hipcub17WarpLoadAlgorithmE1EdEvPT3_S3_.num_named_barrier, 0
	.set _Z16warp_load_kernelILj256ELj8ELj32ELN6hipcub17WarpLoadAlgorithmE1EdEvPT3_S3_.private_seg_size, 0
	.set _Z16warp_load_kernelILj256ELj8ELj32ELN6hipcub17WarpLoadAlgorithmE1EdEvPT3_S3_.uses_vcc, 1
	.set _Z16warp_load_kernelILj256ELj8ELj32ELN6hipcub17WarpLoadAlgorithmE1EdEvPT3_S3_.uses_flat_scratch, 0
	.set _Z16warp_load_kernelILj256ELj8ELj32ELN6hipcub17WarpLoadAlgorithmE1EdEvPT3_S3_.has_dyn_sized_stack, 0
	.set _Z16warp_load_kernelILj256ELj8ELj32ELN6hipcub17WarpLoadAlgorithmE1EdEvPT3_S3_.has_recursion, 0
	.set _Z16warp_load_kernelILj256ELj8ELj32ELN6hipcub17WarpLoadAlgorithmE1EdEvPT3_S3_.has_indirect_call, 0
	.section	.AMDGPU.csdata,"",@progbits
; Kernel info:
; codeLenInByte = 476
; TotalNumSgprs: 7
; NumVgprs: 25
; ScratchSize: 0
; MemoryBound: 1
; FloatMode: 240
; IeeeMode: 1
; LDSByteSize: 0 bytes/workgroup (compile time only)
; SGPRBlocks: 0
; VGPRBlocks: 3
; NumSGPRsForWavesPerEU: 7
; NumVGPRsForWavesPerEU: 25
; Occupancy: 16
; WaveLimiterHint : 1
; COMPUTE_PGM_RSRC2:SCRATCH_EN: 0
; COMPUTE_PGM_RSRC2:USER_SGPR: 2
; COMPUTE_PGM_RSRC2:TRAP_HANDLER: 0
; COMPUTE_PGM_RSRC2:TGID_X_EN: 1
; COMPUTE_PGM_RSRC2:TGID_Y_EN: 0
; COMPUTE_PGM_RSRC2:TGID_Z_EN: 0
; COMPUTE_PGM_RSRC2:TIDIG_COMP_CNT: 0
	.section	.text._Z16warp_load_kernelILj256ELj8ELj32ELN6hipcub17WarpLoadAlgorithmE2EdEvPT3_S3_,"axG",@progbits,_Z16warp_load_kernelILj256ELj8ELj32ELN6hipcub17WarpLoadAlgorithmE2EdEvPT3_S3_,comdat
	.protected	_Z16warp_load_kernelILj256ELj8ELj32ELN6hipcub17WarpLoadAlgorithmE2EdEvPT3_S3_ ; -- Begin function _Z16warp_load_kernelILj256ELj8ELj32ELN6hipcub17WarpLoadAlgorithmE2EdEvPT3_S3_
	.globl	_Z16warp_load_kernelILj256ELj8ELj32ELN6hipcub17WarpLoadAlgorithmE2EdEvPT3_S3_
	.p2align	8
	.type	_Z16warp_load_kernelILj256ELj8ELj32ELN6hipcub17WarpLoadAlgorithmE2EdEvPT3_S3_,@function
_Z16warp_load_kernelILj256ELj8ELj32ELN6hipcub17WarpLoadAlgorithmE2EdEvPT3_S3_: ; @_Z16warp_load_kernelILj256ELj8ELj32ELN6hipcub17WarpLoadAlgorithmE2EdEvPT3_S3_
; %bb.0:
	s_load_b128 s[0:3], s[0:1], 0x0
	v_dual_mov_b32 v18, 0 :: v_dual_lshlrev_b32 v1, 3, v0
	s_lshl_b32 s4, ttmp9, 11
	v_mbcnt_lo_u32_b32 v3, -1, 0
	s_delay_alu instid0(VALU_DEP_2) | instskip(NEXT) | instid1(VALU_DEP_3)
	v_and_or_b32 v17, 0x700, v1, s4
	v_mov_b32_e32 v20, v18
	s_delay_alu instid0(VALU_DEP_3) | instskip(NEXT) | instid1(VALU_DEP_3)
	v_dual_mov_b32 v22, v18 :: v_dual_lshlrev_b32 v3, 6, v3
	v_lshlrev_b64_e32 v[1:2], 3, v[17:18]
	v_or_b32_e32 v17, s4, v0
	s_delay_alu instid0(VALU_DEP_1) | instskip(SKIP_4) | instid1(VALU_DEP_1)
	v_or_b32_e32 v19, 0x500, v17
	v_or_b32_e32 v21, 0x600, v17
	v_lshlrev_b64_e32 v[23:24], 3, v[17:18]
	s_wait_kmcnt 0x0
	v_add_co_u32 v1, vcc_lo, s0, v1
	v_add_co_ci_u32_e64 v2, null, s1, v2, vcc_lo
	v_or_b32_e32 v17, 0x700, v17
	s_delay_alu instid0(VALU_DEP_3) | instskip(SKIP_1) | instid1(VALU_DEP_3)
	v_add_co_u32 v13, vcc_lo, v1, v3
	s_wait_alu 0xfffd
	v_add_co_ci_u32_e64 v14, null, 0, v2, vcc_lo
	v_lshlrev_b64_e32 v[19:20], 3, v[19:20]
	v_lshlrev_b64_e32 v[21:22], 3, v[21:22]
	;; [unrolled: 1-line block ×3, first 2 shown]
	s_clause 0x3
	global_load_b128 v[1:4], v[13:14], off
	global_load_b128 v[5:8], v[13:14], off offset:16
	global_load_b128 v[9:12], v[13:14], off offset:32
	;; [unrolled: 1-line block ×3, first 2 shown]
	v_add_co_u32 v23, vcc_lo, s2, v23
	s_wait_alu 0xfffd
	v_add_co_ci_u32_e64 v24, null, s3, v24, vcc_lo
	v_add_co_u32 v19, vcc_lo, s2, v19
	s_wait_alu 0xfffd
	v_add_co_ci_u32_e64 v20, null, s3, v20, vcc_lo
	;; [unrolled: 3-line block ×4, first 2 shown]
	s_wait_loadcnt 0x3
	s_clause 0x1
	global_store_b64 v[23:24], v[1:2], off
	global_store_b64 v[23:24], v[3:4], off offset:2048
	s_wait_loadcnt 0x2
	s_clause 0x1
	global_store_b64 v[23:24], v[5:6], off offset:4096
	global_store_b64 v[23:24], v[7:8], off offset:6144
	s_wait_loadcnt 0x1
	s_clause 0x1
	global_store_b64 v[23:24], v[9:10], off offset:8192
	global_store_b64 v[19:20], v[11:12], off
	s_wait_loadcnt 0x0
	s_clause 0x1
	global_store_b64 v[21:22], v[13:14], off
	global_store_b64 v[17:18], v[15:16], off
	s_endpgm
	.section	.rodata,"a",@progbits
	.p2align	6, 0x0
	.amdhsa_kernel _Z16warp_load_kernelILj256ELj8ELj32ELN6hipcub17WarpLoadAlgorithmE2EdEvPT3_S3_
		.amdhsa_group_segment_fixed_size 0
		.amdhsa_private_segment_fixed_size 0
		.amdhsa_kernarg_size 16
		.amdhsa_user_sgpr_count 2
		.amdhsa_user_sgpr_dispatch_ptr 0
		.amdhsa_user_sgpr_queue_ptr 0
		.amdhsa_user_sgpr_kernarg_segment_ptr 1
		.amdhsa_user_sgpr_dispatch_id 0
		.amdhsa_user_sgpr_private_segment_size 0
		.amdhsa_wavefront_size32 1
		.amdhsa_uses_dynamic_stack 0
		.amdhsa_enable_private_segment 0
		.amdhsa_system_sgpr_workgroup_id_x 1
		.amdhsa_system_sgpr_workgroup_id_y 0
		.amdhsa_system_sgpr_workgroup_id_z 0
		.amdhsa_system_sgpr_workgroup_info 0
		.amdhsa_system_vgpr_workitem_id 0
		.amdhsa_next_free_vgpr 25
		.amdhsa_next_free_sgpr 5
		.amdhsa_reserve_vcc 1
		.amdhsa_float_round_mode_32 0
		.amdhsa_float_round_mode_16_64 0
		.amdhsa_float_denorm_mode_32 3
		.amdhsa_float_denorm_mode_16_64 3
		.amdhsa_fp16_overflow 0
		.amdhsa_workgroup_processor_mode 1
		.amdhsa_memory_ordered 1
		.amdhsa_forward_progress 1
		.amdhsa_inst_pref_size 4
		.amdhsa_round_robin_scheduling 0
		.amdhsa_exception_fp_ieee_invalid_op 0
		.amdhsa_exception_fp_denorm_src 0
		.amdhsa_exception_fp_ieee_div_zero 0
		.amdhsa_exception_fp_ieee_overflow 0
		.amdhsa_exception_fp_ieee_underflow 0
		.amdhsa_exception_fp_ieee_inexact 0
		.amdhsa_exception_int_div_zero 0
	.end_amdhsa_kernel
	.section	.text._Z16warp_load_kernelILj256ELj8ELj32ELN6hipcub17WarpLoadAlgorithmE2EdEvPT3_S3_,"axG",@progbits,_Z16warp_load_kernelILj256ELj8ELj32ELN6hipcub17WarpLoadAlgorithmE2EdEvPT3_S3_,comdat
.Lfunc_end25:
	.size	_Z16warp_load_kernelILj256ELj8ELj32ELN6hipcub17WarpLoadAlgorithmE2EdEvPT3_S3_, .Lfunc_end25-_Z16warp_load_kernelILj256ELj8ELj32ELN6hipcub17WarpLoadAlgorithmE2EdEvPT3_S3_
                                        ; -- End function
	.set _Z16warp_load_kernelILj256ELj8ELj32ELN6hipcub17WarpLoadAlgorithmE2EdEvPT3_S3_.num_vgpr, 25
	.set _Z16warp_load_kernelILj256ELj8ELj32ELN6hipcub17WarpLoadAlgorithmE2EdEvPT3_S3_.num_agpr, 0
	.set _Z16warp_load_kernelILj256ELj8ELj32ELN6hipcub17WarpLoadAlgorithmE2EdEvPT3_S3_.numbered_sgpr, 5
	.set _Z16warp_load_kernelILj256ELj8ELj32ELN6hipcub17WarpLoadAlgorithmE2EdEvPT3_S3_.num_named_barrier, 0
	.set _Z16warp_load_kernelILj256ELj8ELj32ELN6hipcub17WarpLoadAlgorithmE2EdEvPT3_S3_.private_seg_size, 0
	.set _Z16warp_load_kernelILj256ELj8ELj32ELN6hipcub17WarpLoadAlgorithmE2EdEvPT3_S3_.uses_vcc, 1
	.set _Z16warp_load_kernelILj256ELj8ELj32ELN6hipcub17WarpLoadAlgorithmE2EdEvPT3_S3_.uses_flat_scratch, 0
	.set _Z16warp_load_kernelILj256ELj8ELj32ELN6hipcub17WarpLoadAlgorithmE2EdEvPT3_S3_.has_dyn_sized_stack, 0
	.set _Z16warp_load_kernelILj256ELj8ELj32ELN6hipcub17WarpLoadAlgorithmE2EdEvPT3_S3_.has_recursion, 0
	.set _Z16warp_load_kernelILj256ELj8ELj32ELN6hipcub17WarpLoadAlgorithmE2EdEvPT3_S3_.has_indirect_call, 0
	.section	.AMDGPU.csdata,"",@progbits
; Kernel info:
; codeLenInByte = 420
; TotalNumSgprs: 7
; NumVgprs: 25
; ScratchSize: 0
; MemoryBound: 1
; FloatMode: 240
; IeeeMode: 1
; LDSByteSize: 0 bytes/workgroup (compile time only)
; SGPRBlocks: 0
; VGPRBlocks: 3
; NumSGPRsForWavesPerEU: 7
; NumVGPRsForWavesPerEU: 25
; Occupancy: 16
; WaveLimiterHint : 1
; COMPUTE_PGM_RSRC2:SCRATCH_EN: 0
; COMPUTE_PGM_RSRC2:USER_SGPR: 2
; COMPUTE_PGM_RSRC2:TRAP_HANDLER: 0
; COMPUTE_PGM_RSRC2:TGID_X_EN: 1
; COMPUTE_PGM_RSRC2:TGID_Y_EN: 0
; COMPUTE_PGM_RSRC2:TGID_Z_EN: 0
; COMPUTE_PGM_RSRC2:TIDIG_COMP_CNT: 0
	.section	.text._Z16warp_load_kernelILj256ELj8ELj32ELN6hipcub17WarpLoadAlgorithmE3EdEvPT3_S3_,"axG",@progbits,_Z16warp_load_kernelILj256ELj8ELj32ELN6hipcub17WarpLoadAlgorithmE3EdEvPT3_S3_,comdat
	.protected	_Z16warp_load_kernelILj256ELj8ELj32ELN6hipcub17WarpLoadAlgorithmE3EdEvPT3_S3_ ; -- Begin function _Z16warp_load_kernelILj256ELj8ELj32ELN6hipcub17WarpLoadAlgorithmE3EdEvPT3_S3_
	.globl	_Z16warp_load_kernelILj256ELj8ELj32ELN6hipcub17WarpLoadAlgorithmE3EdEvPT3_S3_
	.p2align	8
	.type	_Z16warp_load_kernelILj256ELj8ELj32ELN6hipcub17WarpLoadAlgorithmE3EdEvPT3_S3_,@function
_Z16warp_load_kernelILj256ELj8ELj32ELN6hipcub17WarpLoadAlgorithmE3EdEvPT3_S3_: ; @_Z16warp_load_kernelILj256ELj8ELj32ELN6hipcub17WarpLoadAlgorithmE3EdEvPT3_S3_
; %bb.0:
	s_load_b128 s[0:3], s[0:1], 0x0
	v_lshrrev_b32_e32 v19, 5, v0
	s_lshl_b32 s4, ttmp9, 11
	v_mov_b32_e32 v2, 0
	v_mbcnt_lo_u32_b32 v25, -1, 0
	s_delay_alu instid0(VALU_DEP_3) | instskip(NEXT) | instid1(VALU_DEP_3)
	v_lshl_or_b32 v1, v19, 8, s4
	v_mov_b32_e32 v20, v2
	s_delay_alu instid0(VALU_DEP_3) | instskip(SKIP_1) | instid1(VALU_DEP_4)
	v_lshlrev_b32_e32 v26, 3, v25
	v_mov_b32_e32 v22, v2
	v_lshlrev_b64_e32 v[3:4], 3, v[1:2]
	s_wait_kmcnt 0x0
	s_delay_alu instid0(VALU_DEP_1) | instskip(NEXT) | instid1(VALU_DEP_1)
	v_add_co_u32 v1, vcc_lo, s0, v3
	v_add_co_ci_u32_e64 v4, null, s1, v4, vcc_lo
	s_delay_alu instid0(VALU_DEP_2) | instskip(SKIP_1) | instid1(VALU_DEP_2)
	v_add_co_u32 v3, vcc_lo, v1, v26
	s_wait_alu 0xfffd
	v_add_co_ci_u32_e64 v4, null, 0, v4, vcc_lo
	v_or_b32_e32 v1, s4, v0
	v_lshlrev_b32_e32 v0, 11, v19
	s_clause 0x7
	global_load_b64 v[5:6], v[3:4], off
	global_load_b64 v[7:8], v[3:4], off offset:256
	global_load_b64 v[9:10], v[3:4], off offset:512
	;; [unrolled: 1-line block ×7, first 2 shown]
	v_lshlrev_b64_e32 v[23:24], 3, v[1:2]
	v_or_b32_e32 v19, 0x500, v1
	v_or_b32_e32 v21, 0x600, v1
	;; [unrolled: 1-line block ×4, first 2 shown]
	v_lshl_or_b32 v28, v25, 6, v0
	v_lshlrev_b64_e32 v[19:20], 3, v[19:20]
	v_lshlrev_b64_e32 v[21:22], 3, v[21:22]
	;; [unrolled: 1-line block ×3, first 2 shown]
	s_wait_loadcnt 0x6
	ds_store_2addr_b64 v27, v[5:6], v[7:8] offset1:32
	s_wait_loadcnt 0x4
	ds_store_2addr_b64 v27, v[9:10], v[11:12] offset0:64 offset1:96
	s_wait_loadcnt 0x2
	ds_store_2addr_b64 v27, v[13:14], v[15:16] offset0:128 offset1:160
	;; [unrolled: 2-line block ×3, first 2 shown]
	; wave barrier
	ds_load_b128 v[0:3], v28
	ds_load_b128 v[4:7], v28 offset:16
	ds_load_b128 v[8:11], v28 offset:32
	ds_load_b128 v[12:15], v28 offset:48
	v_add_co_u32 v16, vcc_lo, s2, v23
	s_wait_alu 0xfffd
	v_add_co_ci_u32_e64 v17, null, s3, v24, vcc_lo
	v_add_co_u32 v18, vcc_lo, s2, v19
	s_wait_alu 0xfffd
	v_add_co_ci_u32_e64 v19, null, s3, v20, vcc_lo
	;; [unrolled: 3-line block ×4, first 2 shown]
	s_wait_dscnt 0x3
	s_clause 0x1
	global_store_b64 v[16:17], v[0:1], off
	global_store_b64 v[16:17], v[2:3], off offset:2048
	s_wait_dscnt 0x2
	s_clause 0x1
	global_store_b64 v[16:17], v[4:5], off offset:4096
	global_store_b64 v[16:17], v[6:7], off offset:6144
	s_wait_dscnt 0x1
	s_clause 0x1
	global_store_b64 v[16:17], v[8:9], off offset:8192
	global_store_b64 v[18:19], v[10:11], off
	s_wait_dscnt 0x0
	s_clause 0x1
	global_store_b64 v[20:21], v[12:13], off
	global_store_b64 v[22:23], v[14:15], off
	s_endpgm
	.section	.rodata,"a",@progbits
	.p2align	6, 0x0
	.amdhsa_kernel _Z16warp_load_kernelILj256ELj8ELj32ELN6hipcub17WarpLoadAlgorithmE3EdEvPT3_S3_
		.amdhsa_group_segment_fixed_size 16384
		.amdhsa_private_segment_fixed_size 0
		.amdhsa_kernarg_size 16
		.amdhsa_user_sgpr_count 2
		.amdhsa_user_sgpr_dispatch_ptr 0
		.amdhsa_user_sgpr_queue_ptr 0
		.amdhsa_user_sgpr_kernarg_segment_ptr 1
		.amdhsa_user_sgpr_dispatch_id 0
		.amdhsa_user_sgpr_private_segment_size 0
		.amdhsa_wavefront_size32 1
		.amdhsa_uses_dynamic_stack 0
		.amdhsa_enable_private_segment 0
		.amdhsa_system_sgpr_workgroup_id_x 1
		.amdhsa_system_sgpr_workgroup_id_y 0
		.amdhsa_system_sgpr_workgroup_id_z 0
		.amdhsa_system_sgpr_workgroup_info 0
		.amdhsa_system_vgpr_workitem_id 0
		.amdhsa_next_free_vgpr 29
		.amdhsa_next_free_sgpr 5
		.amdhsa_reserve_vcc 1
		.amdhsa_float_round_mode_32 0
		.amdhsa_float_round_mode_16_64 0
		.amdhsa_float_denorm_mode_32 3
		.amdhsa_float_denorm_mode_16_64 3
		.amdhsa_fp16_overflow 0
		.amdhsa_workgroup_processor_mode 1
		.amdhsa_memory_ordered 1
		.amdhsa_forward_progress 1
		.amdhsa_inst_pref_size 5
		.amdhsa_round_robin_scheduling 0
		.amdhsa_exception_fp_ieee_invalid_op 0
		.amdhsa_exception_fp_denorm_src 0
		.amdhsa_exception_fp_ieee_div_zero 0
		.amdhsa_exception_fp_ieee_overflow 0
		.amdhsa_exception_fp_ieee_underflow 0
		.amdhsa_exception_fp_ieee_inexact 0
		.amdhsa_exception_int_div_zero 0
	.end_amdhsa_kernel
	.section	.text._Z16warp_load_kernelILj256ELj8ELj32ELN6hipcub17WarpLoadAlgorithmE3EdEvPT3_S3_,"axG",@progbits,_Z16warp_load_kernelILj256ELj8ELj32ELN6hipcub17WarpLoadAlgorithmE3EdEvPT3_S3_,comdat
.Lfunc_end26:
	.size	_Z16warp_load_kernelILj256ELj8ELj32ELN6hipcub17WarpLoadAlgorithmE3EdEvPT3_S3_, .Lfunc_end26-_Z16warp_load_kernelILj256ELj8ELj32ELN6hipcub17WarpLoadAlgorithmE3EdEvPT3_S3_
                                        ; -- End function
	.set _Z16warp_load_kernelILj256ELj8ELj32ELN6hipcub17WarpLoadAlgorithmE3EdEvPT3_S3_.num_vgpr, 29
	.set _Z16warp_load_kernelILj256ELj8ELj32ELN6hipcub17WarpLoadAlgorithmE3EdEvPT3_S3_.num_agpr, 0
	.set _Z16warp_load_kernelILj256ELj8ELj32ELN6hipcub17WarpLoadAlgorithmE3EdEvPT3_S3_.numbered_sgpr, 5
	.set _Z16warp_load_kernelILj256ELj8ELj32ELN6hipcub17WarpLoadAlgorithmE3EdEvPT3_S3_.num_named_barrier, 0
	.set _Z16warp_load_kernelILj256ELj8ELj32ELN6hipcub17WarpLoadAlgorithmE3EdEvPT3_S3_.private_seg_size, 0
	.set _Z16warp_load_kernelILj256ELj8ELj32ELN6hipcub17WarpLoadAlgorithmE3EdEvPT3_S3_.uses_vcc, 1
	.set _Z16warp_load_kernelILj256ELj8ELj32ELN6hipcub17WarpLoadAlgorithmE3EdEvPT3_S3_.uses_flat_scratch, 0
	.set _Z16warp_load_kernelILj256ELj8ELj32ELN6hipcub17WarpLoadAlgorithmE3EdEvPT3_S3_.has_dyn_sized_stack, 0
	.set _Z16warp_load_kernelILj256ELj8ELj32ELN6hipcub17WarpLoadAlgorithmE3EdEvPT3_S3_.has_recursion, 0
	.set _Z16warp_load_kernelILj256ELj8ELj32ELN6hipcub17WarpLoadAlgorithmE3EdEvPT3_S3_.has_indirect_call, 0
	.section	.AMDGPU.csdata,"",@progbits
; Kernel info:
; codeLenInByte = 560
; TotalNumSgprs: 7
; NumVgprs: 29
; ScratchSize: 0
; MemoryBound: 1
; FloatMode: 240
; IeeeMode: 1
; LDSByteSize: 16384 bytes/workgroup (compile time only)
; SGPRBlocks: 0
; VGPRBlocks: 3
; NumSGPRsForWavesPerEU: 7
; NumVGPRsForWavesPerEU: 29
; Occupancy: 16
; WaveLimiterHint : 1
; COMPUTE_PGM_RSRC2:SCRATCH_EN: 0
; COMPUTE_PGM_RSRC2:USER_SGPR: 2
; COMPUTE_PGM_RSRC2:TRAP_HANDLER: 0
; COMPUTE_PGM_RSRC2:TGID_X_EN: 1
; COMPUTE_PGM_RSRC2:TGID_Y_EN: 0
; COMPUTE_PGM_RSRC2:TGID_Z_EN: 0
; COMPUTE_PGM_RSRC2:TIDIG_COMP_CNT: 0
	.section	.text._Z16warp_load_kernelILj256ELj16ELj32ELN6hipcub17WarpLoadAlgorithmE0EdEvPT3_S3_,"axG",@progbits,_Z16warp_load_kernelILj256ELj16ELj32ELN6hipcub17WarpLoadAlgorithmE0EdEvPT3_S3_,comdat
	.protected	_Z16warp_load_kernelILj256ELj16ELj32ELN6hipcub17WarpLoadAlgorithmE0EdEvPT3_S3_ ; -- Begin function _Z16warp_load_kernelILj256ELj16ELj32ELN6hipcub17WarpLoadAlgorithmE0EdEvPT3_S3_
	.globl	_Z16warp_load_kernelILj256ELj16ELj32ELN6hipcub17WarpLoadAlgorithmE0EdEvPT3_S3_
	.p2align	8
	.type	_Z16warp_load_kernelILj256ELj16ELj32ELN6hipcub17WarpLoadAlgorithmE0EdEvPT3_S3_,@function
_Z16warp_load_kernelILj256ELj16ELj32ELN6hipcub17WarpLoadAlgorithmE0EdEvPT3_S3_: ; @_Z16warp_load_kernelILj256ELj16ELj32ELN6hipcub17WarpLoadAlgorithmE0EdEvPT3_S3_
; %bb.0:
	s_load_b128 s[0:3], s[0:1], 0x0
	v_dual_mov_b32 v34, 0 :: v_dual_lshlrev_b32 v1, 4, v0
	s_lshl_b32 s4, ttmp9, 12
	v_mbcnt_lo_u32_b32 v3, -1, 0
	s_delay_alu instid0(VALU_DEP_2) | instskip(NEXT) | instid1(VALU_DEP_3)
	v_and_or_b32 v33, 0xe00, v1, s4
	v_mov_b32_e32 v36, v34
	s_delay_alu instid0(VALU_DEP_3) | instskip(NEXT) | instid1(VALU_DEP_3)
	v_dual_mov_b32 v38, v34 :: v_dual_lshlrev_b32 v3, 7, v3
	v_lshlrev_b64_e32 v[1:2], 3, v[33:34]
	v_or_b32_e32 v33, s4, v0
	s_delay_alu instid0(VALU_DEP_1) | instskip(SKIP_4) | instid1(VALU_DEP_1)
	v_or_b32_e32 v35, 0xd00, v33
	v_or_b32_e32 v37, 0xe00, v33
	v_lshlrev_b64_e32 v[39:40], 3, v[33:34]
	s_wait_kmcnt 0x0
	v_add_co_u32 v1, vcc_lo, s0, v1
	v_add_co_ci_u32_e64 v2, null, s1, v2, vcc_lo
	v_or_b32_e32 v33, 0xf00, v33
	s_delay_alu instid0(VALU_DEP_3) | instskip(SKIP_1) | instid1(VALU_DEP_3)
	v_add_co_u32 v29, vcc_lo, v1, v3
	s_wait_alu 0xfffd
	v_add_co_ci_u32_e64 v30, null, 0, v2, vcc_lo
	v_lshlrev_b64_e32 v[35:36], 3, v[35:36]
	v_lshlrev_b64_e32 v[37:38], 3, v[37:38]
	;; [unrolled: 1-line block ×3, first 2 shown]
	s_clause 0x7
	global_load_b128 v[1:4], v[29:30], off
	global_load_b128 v[5:8], v[29:30], off offset:16
	global_load_b128 v[9:12], v[29:30], off offset:32
	;; [unrolled: 1-line block ×7, first 2 shown]
	v_add_co_u32 v39, vcc_lo, s2, v39
	s_wait_alu 0xfffd
	v_add_co_ci_u32_e64 v40, null, s3, v40, vcc_lo
	v_add_co_u32 v35, vcc_lo, s2, v35
	s_wait_alu 0xfffd
	v_add_co_ci_u32_e64 v36, null, s3, v36, vcc_lo
	v_add_co_u32 v37, vcc_lo, s2, v37
	s_wait_alu 0xfffd
	v_add_co_ci_u32_e64 v38, null, s3, v38, vcc_lo
	v_add_co_u32 v33, vcc_lo, s2, v33
	s_wait_alu 0xfffd
	v_add_co_ci_u32_e64 v34, null, s3, v34, vcc_lo
	s_wait_loadcnt 0x7
	s_clause 0x1
	global_store_b64 v[39:40], v[1:2], off
	global_store_b64 v[39:40], v[3:4], off offset:2048
	s_wait_loadcnt 0x6
	s_clause 0x1
	global_store_b64 v[39:40], v[5:6], off offset:4096
	global_store_b64 v[39:40], v[7:8], off offset:6144
	s_wait_loadcnt 0x5
	s_clause 0x1
	global_store_b64 v[39:40], v[9:10], off offset:8192
	;; [unrolled: 4-line block ×6, first 2 shown]
	global_store_b64 v[35:36], v[27:28], off
	s_wait_loadcnt 0x0
	s_clause 0x1
	global_store_b64 v[37:38], v[29:30], off
	global_store_b64 v[33:34], v[31:32], off
	s_endpgm
	.section	.rodata,"a",@progbits
	.p2align	6, 0x0
	.amdhsa_kernel _Z16warp_load_kernelILj256ELj16ELj32ELN6hipcub17WarpLoadAlgorithmE0EdEvPT3_S3_
		.amdhsa_group_segment_fixed_size 0
		.amdhsa_private_segment_fixed_size 0
		.amdhsa_kernarg_size 16
		.amdhsa_user_sgpr_count 2
		.amdhsa_user_sgpr_dispatch_ptr 0
		.amdhsa_user_sgpr_queue_ptr 0
		.amdhsa_user_sgpr_kernarg_segment_ptr 1
		.amdhsa_user_sgpr_dispatch_id 0
		.amdhsa_user_sgpr_private_segment_size 0
		.amdhsa_wavefront_size32 1
		.amdhsa_uses_dynamic_stack 0
		.amdhsa_enable_private_segment 0
		.amdhsa_system_sgpr_workgroup_id_x 1
		.amdhsa_system_sgpr_workgroup_id_y 0
		.amdhsa_system_sgpr_workgroup_id_z 0
		.amdhsa_system_sgpr_workgroup_info 0
		.amdhsa_system_vgpr_workitem_id 0
		.amdhsa_next_free_vgpr 41
		.amdhsa_next_free_sgpr 5
		.amdhsa_reserve_vcc 1
		.amdhsa_float_round_mode_32 0
		.amdhsa_float_round_mode_16_64 0
		.amdhsa_float_denorm_mode_32 3
		.amdhsa_float_denorm_mode_16_64 3
		.amdhsa_fp16_overflow 0
		.amdhsa_workgroup_processor_mode 1
		.amdhsa_memory_ordered 1
		.amdhsa_forward_progress 1
		.amdhsa_inst_pref_size 5
		.amdhsa_round_robin_scheduling 0
		.amdhsa_exception_fp_ieee_invalid_op 0
		.amdhsa_exception_fp_denorm_src 0
		.amdhsa_exception_fp_ieee_div_zero 0
		.amdhsa_exception_fp_ieee_overflow 0
		.amdhsa_exception_fp_ieee_underflow 0
		.amdhsa_exception_fp_ieee_inexact 0
		.amdhsa_exception_int_div_zero 0
	.end_amdhsa_kernel
	.section	.text._Z16warp_load_kernelILj256ELj16ELj32ELN6hipcub17WarpLoadAlgorithmE0EdEvPT3_S3_,"axG",@progbits,_Z16warp_load_kernelILj256ELj16ELj32ELN6hipcub17WarpLoadAlgorithmE0EdEvPT3_S3_,comdat
.Lfunc_end27:
	.size	_Z16warp_load_kernelILj256ELj16ELj32ELN6hipcub17WarpLoadAlgorithmE0EdEvPT3_S3_, .Lfunc_end27-_Z16warp_load_kernelILj256ELj16ELj32ELN6hipcub17WarpLoadAlgorithmE0EdEvPT3_S3_
                                        ; -- End function
	.set _Z16warp_load_kernelILj256ELj16ELj32ELN6hipcub17WarpLoadAlgorithmE0EdEvPT3_S3_.num_vgpr, 41
	.set _Z16warp_load_kernelILj256ELj16ELj32ELN6hipcub17WarpLoadAlgorithmE0EdEvPT3_S3_.num_agpr, 0
	.set _Z16warp_load_kernelILj256ELj16ELj32ELN6hipcub17WarpLoadAlgorithmE0EdEvPT3_S3_.numbered_sgpr, 5
	.set _Z16warp_load_kernelILj256ELj16ELj32ELN6hipcub17WarpLoadAlgorithmE0EdEvPT3_S3_.num_named_barrier, 0
	.set _Z16warp_load_kernelILj256ELj16ELj32ELN6hipcub17WarpLoadAlgorithmE0EdEvPT3_S3_.private_seg_size, 0
	.set _Z16warp_load_kernelILj256ELj16ELj32ELN6hipcub17WarpLoadAlgorithmE0EdEvPT3_S3_.uses_vcc, 1
	.set _Z16warp_load_kernelILj256ELj16ELj32ELN6hipcub17WarpLoadAlgorithmE0EdEvPT3_S3_.uses_flat_scratch, 0
	.set _Z16warp_load_kernelILj256ELj16ELj32ELN6hipcub17WarpLoadAlgorithmE0EdEvPT3_S3_.has_dyn_sized_stack, 0
	.set _Z16warp_load_kernelILj256ELj16ELj32ELN6hipcub17WarpLoadAlgorithmE0EdEvPT3_S3_.has_recursion, 0
	.set _Z16warp_load_kernelILj256ELj16ELj32ELN6hipcub17WarpLoadAlgorithmE0EdEvPT3_S3_.has_indirect_call, 0
	.section	.AMDGPU.csdata,"",@progbits
; Kernel info:
; codeLenInByte = 596
; TotalNumSgprs: 7
; NumVgprs: 41
; ScratchSize: 0
; MemoryBound: 1
; FloatMode: 240
; IeeeMode: 1
; LDSByteSize: 0 bytes/workgroup (compile time only)
; SGPRBlocks: 0
; VGPRBlocks: 5
; NumSGPRsForWavesPerEU: 7
; NumVGPRsForWavesPerEU: 41
; Occupancy: 16
; WaveLimiterHint : 1
; COMPUTE_PGM_RSRC2:SCRATCH_EN: 0
; COMPUTE_PGM_RSRC2:USER_SGPR: 2
; COMPUTE_PGM_RSRC2:TRAP_HANDLER: 0
; COMPUTE_PGM_RSRC2:TGID_X_EN: 1
; COMPUTE_PGM_RSRC2:TGID_Y_EN: 0
; COMPUTE_PGM_RSRC2:TGID_Z_EN: 0
; COMPUTE_PGM_RSRC2:TIDIG_COMP_CNT: 0
	.section	.text._Z16warp_load_kernelILj256ELj16ELj32ELN6hipcub17WarpLoadAlgorithmE1EdEvPT3_S3_,"axG",@progbits,_Z16warp_load_kernelILj256ELj16ELj32ELN6hipcub17WarpLoadAlgorithmE1EdEvPT3_S3_,comdat
	.protected	_Z16warp_load_kernelILj256ELj16ELj32ELN6hipcub17WarpLoadAlgorithmE1EdEvPT3_S3_ ; -- Begin function _Z16warp_load_kernelILj256ELj16ELj32ELN6hipcub17WarpLoadAlgorithmE1EdEvPT3_S3_
	.globl	_Z16warp_load_kernelILj256ELj16ELj32ELN6hipcub17WarpLoadAlgorithmE1EdEvPT3_S3_
	.p2align	8
	.type	_Z16warp_load_kernelILj256ELj16ELj32ELN6hipcub17WarpLoadAlgorithmE1EdEvPT3_S3_,@function
_Z16warp_load_kernelILj256ELj16ELj32ELN6hipcub17WarpLoadAlgorithmE1EdEvPT3_S3_: ; @_Z16warp_load_kernelILj256ELj16ELj32ELN6hipcub17WarpLoadAlgorithmE1EdEvPT3_S3_
; %bb.0:
	s_load_b128 s[0:3], s[0:1], 0x0
	v_dual_mov_b32 v2, 0 :: v_dual_lshlrev_b32 v1, 4, v0
	s_lshl_b32 s4, ttmp9, 12
	v_mbcnt_lo_u32_b32 v5, -1, 0
	s_delay_alu instid0(VALU_DEP_2) | instskip(NEXT) | instid1(VALU_DEP_3)
	v_and_or_b32 v1, 0xe00, v1, s4
	v_mov_b32_e32 v38, v2
	v_mov_b32_e32 v36, v2
	s_delay_alu instid0(VALU_DEP_3) | instskip(SKIP_2) | instid1(VALU_DEP_2)
	v_lshlrev_b64_e32 v[3:4], 3, v[1:2]
	v_lshlrev_b32_e32 v1, 3, v5
	s_wait_kmcnt 0x0
	v_add_co_u32 v3, vcc_lo, s0, v3
	s_delay_alu instid0(VALU_DEP_1) | instskip(NEXT) | instid1(VALU_DEP_2)
	v_add_co_ci_u32_e64 v4, null, s1, v4, vcc_lo
	v_add_co_u32 v3, vcc_lo, v3, v1
	s_wait_alu 0xfffd
	s_delay_alu instid0(VALU_DEP_2)
	v_add_co_ci_u32_e64 v4, null, 0, v4, vcc_lo
	v_or_b32_e32 v1, s4, v0
	s_clause 0xf
	global_load_b64 v[5:6], v[3:4], off
	global_load_b64 v[7:8], v[3:4], off offset:256
	global_load_b64 v[9:10], v[3:4], off offset:512
	;; [unrolled: 1-line block ×15, first 2 shown]
	v_or_b32_e32 v35, 0xd00, v1
	v_or_b32_e32 v37, 0xe00, v1
	v_lshlrev_b64_e32 v[39:40], 3, v[1:2]
	v_or_b32_e32 v1, 0xf00, v1
	s_delay_alu instid0(VALU_DEP_4) | instskip(NEXT) | instid1(VALU_DEP_4)
	v_lshlrev_b64_e32 v[35:36], 3, v[35:36]
	v_lshlrev_b64_e32 v[37:38], 3, v[37:38]
	s_delay_alu instid0(VALU_DEP_3)
	v_lshlrev_b64_e32 v[0:1], 3, v[1:2]
	v_add_co_u32 v39, vcc_lo, s2, v39
	s_wait_alu 0xfffd
	v_add_co_ci_u32_e64 v40, null, s3, v40, vcc_lo
	v_add_co_u32 v35, vcc_lo, s2, v35
	s_wait_alu 0xfffd
	v_add_co_ci_u32_e64 v36, null, s3, v36, vcc_lo
	;; [unrolled: 3-line block ×4, first 2 shown]
	s_wait_loadcnt 0xf
	global_store_b64 v[39:40], v[5:6], off
	s_wait_loadcnt 0xe
	global_store_b64 v[39:40], v[7:8], off offset:2048
	s_wait_loadcnt 0xd
	global_store_b64 v[39:40], v[9:10], off offset:4096
	;; [unrolled: 2-line block ×12, first 2 shown]
	s_wait_loadcnt 0x2
	global_store_b64 v[35:36], v[31:32], off
	s_wait_loadcnt 0x1
	global_store_b64 v[37:38], v[33:34], off
	;; [unrolled: 2-line block ×3, first 2 shown]
	s_endpgm
	.section	.rodata,"a",@progbits
	.p2align	6, 0x0
	.amdhsa_kernel _Z16warp_load_kernelILj256ELj16ELj32ELN6hipcub17WarpLoadAlgorithmE1EdEvPT3_S3_
		.amdhsa_group_segment_fixed_size 0
		.amdhsa_private_segment_fixed_size 0
		.amdhsa_kernarg_size 16
		.amdhsa_user_sgpr_count 2
		.amdhsa_user_sgpr_dispatch_ptr 0
		.amdhsa_user_sgpr_queue_ptr 0
		.amdhsa_user_sgpr_kernarg_segment_ptr 1
		.amdhsa_user_sgpr_dispatch_id 0
		.amdhsa_user_sgpr_private_segment_size 0
		.amdhsa_wavefront_size32 1
		.amdhsa_uses_dynamic_stack 0
		.amdhsa_enable_private_segment 0
		.amdhsa_system_sgpr_workgroup_id_x 1
		.amdhsa_system_sgpr_workgroup_id_y 0
		.amdhsa_system_sgpr_workgroup_id_z 0
		.amdhsa_system_sgpr_workgroup_info 0
		.amdhsa_system_vgpr_workitem_id 0
		.amdhsa_next_free_vgpr 41
		.amdhsa_next_free_sgpr 5
		.amdhsa_reserve_vcc 1
		.amdhsa_float_round_mode_32 0
		.amdhsa_float_round_mode_16_64 0
		.amdhsa_float_denorm_mode_32 3
		.amdhsa_float_denorm_mode_16_64 3
		.amdhsa_fp16_overflow 0
		.amdhsa_workgroup_processor_mode 1
		.amdhsa_memory_ordered 1
		.amdhsa_forward_progress 1
		.amdhsa_inst_pref_size 6
		.amdhsa_round_robin_scheduling 0
		.amdhsa_exception_fp_ieee_invalid_op 0
		.amdhsa_exception_fp_denorm_src 0
		.amdhsa_exception_fp_ieee_div_zero 0
		.amdhsa_exception_fp_ieee_overflow 0
		.amdhsa_exception_fp_ieee_underflow 0
		.amdhsa_exception_fp_ieee_inexact 0
		.amdhsa_exception_int_div_zero 0
	.end_amdhsa_kernel
	.section	.text._Z16warp_load_kernelILj256ELj16ELj32ELN6hipcub17WarpLoadAlgorithmE1EdEvPT3_S3_,"axG",@progbits,_Z16warp_load_kernelILj256ELj16ELj32ELN6hipcub17WarpLoadAlgorithmE1EdEvPT3_S3_,comdat
.Lfunc_end28:
	.size	_Z16warp_load_kernelILj256ELj16ELj32ELN6hipcub17WarpLoadAlgorithmE1EdEvPT3_S3_, .Lfunc_end28-_Z16warp_load_kernelILj256ELj16ELj32ELN6hipcub17WarpLoadAlgorithmE1EdEvPT3_S3_
                                        ; -- End function
	.set _Z16warp_load_kernelILj256ELj16ELj32ELN6hipcub17WarpLoadAlgorithmE1EdEvPT3_S3_.num_vgpr, 41
	.set _Z16warp_load_kernelILj256ELj16ELj32ELN6hipcub17WarpLoadAlgorithmE1EdEvPT3_S3_.num_agpr, 0
	.set _Z16warp_load_kernelILj256ELj16ELj32ELN6hipcub17WarpLoadAlgorithmE1EdEvPT3_S3_.numbered_sgpr, 5
	.set _Z16warp_load_kernelILj256ELj16ELj32ELN6hipcub17WarpLoadAlgorithmE1EdEvPT3_S3_.num_named_barrier, 0
	.set _Z16warp_load_kernelILj256ELj16ELj32ELN6hipcub17WarpLoadAlgorithmE1EdEvPT3_S3_.private_seg_size, 0
	.set _Z16warp_load_kernelILj256ELj16ELj32ELN6hipcub17WarpLoadAlgorithmE1EdEvPT3_S3_.uses_vcc, 1
	.set _Z16warp_load_kernelILj256ELj16ELj32ELN6hipcub17WarpLoadAlgorithmE1EdEvPT3_S3_.uses_flat_scratch, 0
	.set _Z16warp_load_kernelILj256ELj16ELj32ELN6hipcub17WarpLoadAlgorithmE1EdEvPT3_S3_.has_dyn_sized_stack, 0
	.set _Z16warp_load_kernelILj256ELj16ELj32ELN6hipcub17WarpLoadAlgorithmE1EdEvPT3_S3_.has_recursion, 0
	.set _Z16warp_load_kernelILj256ELj16ELj32ELN6hipcub17WarpLoadAlgorithmE1EdEvPT3_S3_.has_indirect_call, 0
	.section	.AMDGPU.csdata,"",@progbits
; Kernel info:
; codeLenInByte = 700
; TotalNumSgprs: 7
; NumVgprs: 41
; ScratchSize: 0
; MemoryBound: 1
; FloatMode: 240
; IeeeMode: 1
; LDSByteSize: 0 bytes/workgroup (compile time only)
; SGPRBlocks: 0
; VGPRBlocks: 5
; NumSGPRsForWavesPerEU: 7
; NumVGPRsForWavesPerEU: 41
; Occupancy: 16
; WaveLimiterHint : 1
; COMPUTE_PGM_RSRC2:SCRATCH_EN: 0
; COMPUTE_PGM_RSRC2:USER_SGPR: 2
; COMPUTE_PGM_RSRC2:TRAP_HANDLER: 0
; COMPUTE_PGM_RSRC2:TGID_X_EN: 1
; COMPUTE_PGM_RSRC2:TGID_Y_EN: 0
; COMPUTE_PGM_RSRC2:TGID_Z_EN: 0
; COMPUTE_PGM_RSRC2:TIDIG_COMP_CNT: 0
	.section	.text._Z16warp_load_kernelILj256ELj16ELj32ELN6hipcub17WarpLoadAlgorithmE2EdEvPT3_S3_,"axG",@progbits,_Z16warp_load_kernelILj256ELj16ELj32ELN6hipcub17WarpLoadAlgorithmE2EdEvPT3_S3_,comdat
	.protected	_Z16warp_load_kernelILj256ELj16ELj32ELN6hipcub17WarpLoadAlgorithmE2EdEvPT3_S3_ ; -- Begin function _Z16warp_load_kernelILj256ELj16ELj32ELN6hipcub17WarpLoadAlgorithmE2EdEvPT3_S3_
	.globl	_Z16warp_load_kernelILj256ELj16ELj32ELN6hipcub17WarpLoadAlgorithmE2EdEvPT3_S3_
	.p2align	8
	.type	_Z16warp_load_kernelILj256ELj16ELj32ELN6hipcub17WarpLoadAlgorithmE2EdEvPT3_S3_,@function
_Z16warp_load_kernelILj256ELj16ELj32ELN6hipcub17WarpLoadAlgorithmE2EdEvPT3_S3_: ; @_Z16warp_load_kernelILj256ELj16ELj32ELN6hipcub17WarpLoadAlgorithmE2EdEvPT3_S3_
; %bb.0:
	s_load_b128 s[0:3], s[0:1], 0x0
	v_dual_mov_b32 v34, 0 :: v_dual_lshlrev_b32 v1, 4, v0
	s_lshl_b32 s4, ttmp9, 12
	v_mbcnt_lo_u32_b32 v3, -1, 0
	s_delay_alu instid0(VALU_DEP_2) | instskip(NEXT) | instid1(VALU_DEP_3)
	v_and_or_b32 v33, 0xe00, v1, s4
	v_mov_b32_e32 v36, v34
	s_delay_alu instid0(VALU_DEP_3) | instskip(NEXT) | instid1(VALU_DEP_3)
	v_dual_mov_b32 v38, v34 :: v_dual_lshlrev_b32 v3, 7, v3
	v_lshlrev_b64_e32 v[1:2], 3, v[33:34]
	v_or_b32_e32 v33, s4, v0
	s_delay_alu instid0(VALU_DEP_1) | instskip(SKIP_4) | instid1(VALU_DEP_1)
	v_or_b32_e32 v35, 0xd00, v33
	v_or_b32_e32 v37, 0xe00, v33
	v_lshlrev_b64_e32 v[39:40], 3, v[33:34]
	s_wait_kmcnt 0x0
	v_add_co_u32 v1, vcc_lo, s0, v1
	v_add_co_ci_u32_e64 v2, null, s1, v2, vcc_lo
	v_or_b32_e32 v33, 0xf00, v33
	s_delay_alu instid0(VALU_DEP_3) | instskip(SKIP_1) | instid1(VALU_DEP_3)
	v_add_co_u32 v29, vcc_lo, v1, v3
	s_wait_alu 0xfffd
	v_add_co_ci_u32_e64 v30, null, 0, v2, vcc_lo
	v_lshlrev_b64_e32 v[35:36], 3, v[35:36]
	v_lshlrev_b64_e32 v[37:38], 3, v[37:38]
	;; [unrolled: 1-line block ×3, first 2 shown]
	s_clause 0x7
	global_load_b128 v[1:4], v[29:30], off
	global_load_b128 v[5:8], v[29:30], off offset:16
	global_load_b128 v[9:12], v[29:30], off offset:32
	;; [unrolled: 1-line block ×7, first 2 shown]
	v_add_co_u32 v39, vcc_lo, s2, v39
	s_wait_alu 0xfffd
	v_add_co_ci_u32_e64 v40, null, s3, v40, vcc_lo
	v_add_co_u32 v35, vcc_lo, s2, v35
	s_wait_alu 0xfffd
	v_add_co_ci_u32_e64 v36, null, s3, v36, vcc_lo
	v_add_co_u32 v37, vcc_lo, s2, v37
	s_wait_alu 0xfffd
	v_add_co_ci_u32_e64 v38, null, s3, v38, vcc_lo
	v_add_co_u32 v33, vcc_lo, s2, v33
	s_wait_alu 0xfffd
	v_add_co_ci_u32_e64 v34, null, s3, v34, vcc_lo
	s_wait_loadcnt 0x7
	s_clause 0x1
	global_store_b64 v[39:40], v[1:2], off
	global_store_b64 v[39:40], v[3:4], off offset:2048
	s_wait_loadcnt 0x6
	s_clause 0x1
	global_store_b64 v[39:40], v[5:6], off offset:4096
	global_store_b64 v[39:40], v[7:8], off offset:6144
	s_wait_loadcnt 0x5
	s_clause 0x1
	global_store_b64 v[39:40], v[9:10], off offset:8192
	;; [unrolled: 4-line block ×6, first 2 shown]
	global_store_b64 v[35:36], v[27:28], off
	s_wait_loadcnt 0x0
	s_clause 0x1
	global_store_b64 v[37:38], v[29:30], off
	global_store_b64 v[33:34], v[31:32], off
	s_endpgm
	.section	.rodata,"a",@progbits
	.p2align	6, 0x0
	.amdhsa_kernel _Z16warp_load_kernelILj256ELj16ELj32ELN6hipcub17WarpLoadAlgorithmE2EdEvPT3_S3_
		.amdhsa_group_segment_fixed_size 0
		.amdhsa_private_segment_fixed_size 0
		.amdhsa_kernarg_size 16
		.amdhsa_user_sgpr_count 2
		.amdhsa_user_sgpr_dispatch_ptr 0
		.amdhsa_user_sgpr_queue_ptr 0
		.amdhsa_user_sgpr_kernarg_segment_ptr 1
		.amdhsa_user_sgpr_dispatch_id 0
		.amdhsa_user_sgpr_private_segment_size 0
		.amdhsa_wavefront_size32 1
		.amdhsa_uses_dynamic_stack 0
		.amdhsa_enable_private_segment 0
		.amdhsa_system_sgpr_workgroup_id_x 1
		.amdhsa_system_sgpr_workgroup_id_y 0
		.amdhsa_system_sgpr_workgroup_id_z 0
		.amdhsa_system_sgpr_workgroup_info 0
		.amdhsa_system_vgpr_workitem_id 0
		.amdhsa_next_free_vgpr 41
		.amdhsa_next_free_sgpr 5
		.amdhsa_reserve_vcc 1
		.amdhsa_float_round_mode_32 0
		.amdhsa_float_round_mode_16_64 0
		.amdhsa_float_denorm_mode_32 3
		.amdhsa_float_denorm_mode_16_64 3
		.amdhsa_fp16_overflow 0
		.amdhsa_workgroup_processor_mode 1
		.amdhsa_memory_ordered 1
		.amdhsa_forward_progress 1
		.amdhsa_inst_pref_size 5
		.amdhsa_round_robin_scheduling 0
		.amdhsa_exception_fp_ieee_invalid_op 0
		.amdhsa_exception_fp_denorm_src 0
		.amdhsa_exception_fp_ieee_div_zero 0
		.amdhsa_exception_fp_ieee_overflow 0
		.amdhsa_exception_fp_ieee_underflow 0
		.amdhsa_exception_fp_ieee_inexact 0
		.amdhsa_exception_int_div_zero 0
	.end_amdhsa_kernel
	.section	.text._Z16warp_load_kernelILj256ELj16ELj32ELN6hipcub17WarpLoadAlgorithmE2EdEvPT3_S3_,"axG",@progbits,_Z16warp_load_kernelILj256ELj16ELj32ELN6hipcub17WarpLoadAlgorithmE2EdEvPT3_S3_,comdat
.Lfunc_end29:
	.size	_Z16warp_load_kernelILj256ELj16ELj32ELN6hipcub17WarpLoadAlgorithmE2EdEvPT3_S3_, .Lfunc_end29-_Z16warp_load_kernelILj256ELj16ELj32ELN6hipcub17WarpLoadAlgorithmE2EdEvPT3_S3_
                                        ; -- End function
	.set _Z16warp_load_kernelILj256ELj16ELj32ELN6hipcub17WarpLoadAlgorithmE2EdEvPT3_S3_.num_vgpr, 41
	.set _Z16warp_load_kernelILj256ELj16ELj32ELN6hipcub17WarpLoadAlgorithmE2EdEvPT3_S3_.num_agpr, 0
	.set _Z16warp_load_kernelILj256ELj16ELj32ELN6hipcub17WarpLoadAlgorithmE2EdEvPT3_S3_.numbered_sgpr, 5
	.set _Z16warp_load_kernelILj256ELj16ELj32ELN6hipcub17WarpLoadAlgorithmE2EdEvPT3_S3_.num_named_barrier, 0
	.set _Z16warp_load_kernelILj256ELj16ELj32ELN6hipcub17WarpLoadAlgorithmE2EdEvPT3_S3_.private_seg_size, 0
	.set _Z16warp_load_kernelILj256ELj16ELj32ELN6hipcub17WarpLoadAlgorithmE2EdEvPT3_S3_.uses_vcc, 1
	.set _Z16warp_load_kernelILj256ELj16ELj32ELN6hipcub17WarpLoadAlgorithmE2EdEvPT3_S3_.uses_flat_scratch, 0
	.set _Z16warp_load_kernelILj256ELj16ELj32ELN6hipcub17WarpLoadAlgorithmE2EdEvPT3_S3_.has_dyn_sized_stack, 0
	.set _Z16warp_load_kernelILj256ELj16ELj32ELN6hipcub17WarpLoadAlgorithmE2EdEvPT3_S3_.has_recursion, 0
	.set _Z16warp_load_kernelILj256ELj16ELj32ELN6hipcub17WarpLoadAlgorithmE2EdEvPT3_S3_.has_indirect_call, 0
	.section	.AMDGPU.csdata,"",@progbits
; Kernel info:
; codeLenInByte = 596
; TotalNumSgprs: 7
; NumVgprs: 41
; ScratchSize: 0
; MemoryBound: 1
; FloatMode: 240
; IeeeMode: 1
; LDSByteSize: 0 bytes/workgroup (compile time only)
; SGPRBlocks: 0
; VGPRBlocks: 5
; NumSGPRsForWavesPerEU: 7
; NumVGPRsForWavesPerEU: 41
; Occupancy: 16
; WaveLimiterHint : 1
; COMPUTE_PGM_RSRC2:SCRATCH_EN: 0
; COMPUTE_PGM_RSRC2:USER_SGPR: 2
; COMPUTE_PGM_RSRC2:TRAP_HANDLER: 0
; COMPUTE_PGM_RSRC2:TGID_X_EN: 1
; COMPUTE_PGM_RSRC2:TGID_Y_EN: 0
; COMPUTE_PGM_RSRC2:TGID_Z_EN: 0
; COMPUTE_PGM_RSRC2:TIDIG_COMP_CNT: 0
	.section	.text._Z16warp_load_kernelILj256ELj16ELj32ELN6hipcub17WarpLoadAlgorithmE3EdEvPT3_S3_,"axG",@progbits,_Z16warp_load_kernelILj256ELj16ELj32ELN6hipcub17WarpLoadAlgorithmE3EdEvPT3_S3_,comdat
	.protected	_Z16warp_load_kernelILj256ELj16ELj32ELN6hipcub17WarpLoadAlgorithmE3EdEvPT3_S3_ ; -- Begin function _Z16warp_load_kernelILj256ELj16ELj32ELN6hipcub17WarpLoadAlgorithmE3EdEvPT3_S3_
	.globl	_Z16warp_load_kernelILj256ELj16ELj32ELN6hipcub17WarpLoadAlgorithmE3EdEvPT3_S3_
	.p2align	8
	.type	_Z16warp_load_kernelILj256ELj16ELj32ELN6hipcub17WarpLoadAlgorithmE3EdEvPT3_S3_,@function
_Z16warp_load_kernelILj256ELj16ELj32ELN6hipcub17WarpLoadAlgorithmE3EdEvPT3_S3_: ; @_Z16warp_load_kernelILj256ELj16ELj32ELN6hipcub17WarpLoadAlgorithmE3EdEvPT3_S3_
; %bb.0:
	s_load_b128 s[0:3], s[0:1], 0x0
	v_lshrrev_b32_e32 v35, 5, v0
	s_lshl_b32 s4, ttmp9, 12
	v_mbcnt_lo_u32_b32 v41, -1, 0
	v_mov_b32_e32 v2, 0
	s_delay_alu instid0(VALU_DEP_3) | instskip(SKIP_1) | instid1(VALU_DEP_3)
	v_lshl_or_b32 v1, v35, 9, s4
	v_lshlrev_b32_e32 v42, 12, v35
	v_dual_mov_b32 v36, v2 :: v_dual_lshlrev_b32 v37, 3, v41
	v_mov_b32_e32 v38, v2
	s_delay_alu instid0(VALU_DEP_4) | instskip(NEXT) | instid1(VALU_DEP_4)
	v_lshlrev_b64_e32 v[3:4], 3, v[1:2]
	v_lshl_or_b32 v43, v41, 7, v42
	s_wait_kmcnt 0x0
	s_delay_alu instid0(VALU_DEP_2) | instskip(NEXT) | instid1(VALU_DEP_1)
	v_add_co_u32 v1, vcc_lo, s0, v3
	v_add_co_ci_u32_e64 v4, null, s1, v4, vcc_lo
	s_delay_alu instid0(VALU_DEP_2) | instskip(SKIP_1) | instid1(VALU_DEP_2)
	v_add_co_u32 v3, vcc_lo, v1, v37
	s_wait_alu 0xfffd
	v_add_co_ci_u32_e64 v4, null, 0, v4, vcc_lo
	v_or_b32_e32 v1, s4, v0
	v_or_b32_e32 v0, v42, v37
	s_clause 0xf
	global_load_b64 v[5:6], v[3:4], off
	global_load_b64 v[7:8], v[3:4], off offset:256
	global_load_b64 v[9:10], v[3:4], off offset:512
	;; [unrolled: 1-line block ×15, first 2 shown]
	v_lshlrev_b64_e32 v[39:40], 3, v[1:2]
	v_or_b32_e32 v35, 0xd00, v1
	v_or_b32_e32 v37, 0xe00, v1
	;; [unrolled: 1-line block ×3, first 2 shown]
	v_add_nc_u32_e32 v44, 0x800, v0
	s_wait_loadcnt 0xe
	ds_store_2addr_b64 v0, v[5:6], v[7:8] offset1:32
	s_wait_loadcnt 0xc
	ds_store_2addr_b64 v0, v[9:10], v[11:12] offset0:64 offset1:96
	s_wait_loadcnt 0xa
	ds_store_2addr_b64 v0, v[13:14], v[15:16] offset0:128 offset1:160
	;; [unrolled: 2-line block ×3, first 2 shown]
	s_wait_loadcnt 0x6
	ds_store_2addr_b64 v44, v[21:22], v[23:24] offset1:32
	s_wait_loadcnt 0x4
	ds_store_2addr_b64 v44, v[25:26], v[27:28] offset0:64 offset1:96
	s_wait_loadcnt 0x2
	ds_store_2addr_b64 v44, v[29:30], v[31:32] offset0:128 offset1:160
	;; [unrolled: 2-line block ×3, first 2 shown]
	v_lshlrev_b64_e32 v[41:42], 3, v[1:2]
	; wave barrier
	ds_load_b128 v[0:3], v43
	ds_load_b128 v[4:7], v43 offset:16
	ds_load_b128 v[8:11], v43 offset:32
	;; [unrolled: 1-line block ×7, first 2 shown]
	v_lshlrev_b64_e32 v[35:36], 3, v[35:36]
	v_lshlrev_b64_e32 v[37:38], 3, v[37:38]
	v_add_co_u32 v39, vcc_lo, s2, v39
	s_wait_alu 0xfffd
	v_add_co_ci_u32_e64 v40, null, s3, v40, vcc_lo
	s_delay_alu instid0(VALU_DEP_4)
	v_add_co_u32 v32, vcc_lo, s2, v35
	s_wait_alu 0xfffd
	v_add_co_ci_u32_e64 v33, null, s3, v36, vcc_lo
	v_add_co_u32 v34, vcc_lo, s2, v37
	s_wait_alu 0xfffd
	v_add_co_ci_u32_e64 v35, null, s3, v38, vcc_lo
	;; [unrolled: 3-line block ×3, first 2 shown]
	s_wait_dscnt 0x7
	s_clause 0x1
	global_store_b64 v[39:40], v[0:1], off
	global_store_b64 v[39:40], v[2:3], off offset:2048
	s_wait_dscnt 0x6
	s_clause 0x1
	global_store_b64 v[39:40], v[4:5], off offset:4096
	global_store_b64 v[39:40], v[6:7], off offset:6144
	s_wait_dscnt 0x5
	s_clause 0x1
	global_store_b64 v[39:40], v[8:9], off offset:8192
	;; [unrolled: 4-line block ×6, first 2 shown]
	global_store_b64 v[32:33], v[26:27], off
	s_wait_dscnt 0x0
	s_clause 0x1
	global_store_b64 v[34:35], v[28:29], off
	global_store_b64 v[36:37], v[30:31], off
	s_endpgm
	.section	.rodata,"a",@progbits
	.p2align	6, 0x0
	.amdhsa_kernel _Z16warp_load_kernelILj256ELj16ELj32ELN6hipcub17WarpLoadAlgorithmE3EdEvPT3_S3_
		.amdhsa_group_segment_fixed_size 32768
		.amdhsa_private_segment_fixed_size 0
		.amdhsa_kernarg_size 16
		.amdhsa_user_sgpr_count 2
		.amdhsa_user_sgpr_dispatch_ptr 0
		.amdhsa_user_sgpr_queue_ptr 0
		.amdhsa_user_sgpr_kernarg_segment_ptr 1
		.amdhsa_user_sgpr_dispatch_id 0
		.amdhsa_user_sgpr_private_segment_size 0
		.amdhsa_wavefront_size32 1
		.amdhsa_uses_dynamic_stack 0
		.amdhsa_enable_private_segment 0
		.amdhsa_system_sgpr_workgroup_id_x 1
		.amdhsa_system_sgpr_workgroup_id_y 0
		.amdhsa_system_sgpr_workgroup_id_z 0
		.amdhsa_system_sgpr_workgroup_info 0
		.amdhsa_system_vgpr_workitem_id 0
		.amdhsa_next_free_vgpr 169
		.amdhsa_next_free_sgpr 5
		.amdhsa_reserve_vcc 1
		.amdhsa_float_round_mode_32 0
		.amdhsa_float_round_mode_16_64 0
		.amdhsa_float_denorm_mode_32 3
		.amdhsa_float_denorm_mode_16_64 3
		.amdhsa_fp16_overflow 0
		.amdhsa_workgroup_processor_mode 1
		.amdhsa_memory_ordered 1
		.amdhsa_forward_progress 1
		.amdhsa_inst_pref_size 7
		.amdhsa_round_robin_scheduling 0
		.amdhsa_exception_fp_ieee_invalid_op 0
		.amdhsa_exception_fp_denorm_src 0
		.amdhsa_exception_fp_ieee_div_zero 0
		.amdhsa_exception_fp_ieee_overflow 0
		.amdhsa_exception_fp_ieee_underflow 0
		.amdhsa_exception_fp_ieee_inexact 0
		.amdhsa_exception_int_div_zero 0
	.end_amdhsa_kernel
	.section	.text._Z16warp_load_kernelILj256ELj16ELj32ELN6hipcub17WarpLoadAlgorithmE3EdEvPT3_S3_,"axG",@progbits,_Z16warp_load_kernelILj256ELj16ELj32ELN6hipcub17WarpLoadAlgorithmE3EdEvPT3_S3_,comdat
.Lfunc_end30:
	.size	_Z16warp_load_kernelILj256ELj16ELj32ELN6hipcub17WarpLoadAlgorithmE3EdEvPT3_S3_, .Lfunc_end30-_Z16warp_load_kernelILj256ELj16ELj32ELN6hipcub17WarpLoadAlgorithmE3EdEvPT3_S3_
                                        ; -- End function
	.set _Z16warp_load_kernelILj256ELj16ELj32ELN6hipcub17WarpLoadAlgorithmE3EdEvPT3_S3_.num_vgpr, 45
	.set _Z16warp_load_kernelILj256ELj16ELj32ELN6hipcub17WarpLoadAlgorithmE3EdEvPT3_S3_.num_agpr, 0
	.set _Z16warp_load_kernelILj256ELj16ELj32ELN6hipcub17WarpLoadAlgorithmE3EdEvPT3_S3_.numbered_sgpr, 5
	.set _Z16warp_load_kernelILj256ELj16ELj32ELN6hipcub17WarpLoadAlgorithmE3EdEvPT3_S3_.num_named_barrier, 0
	.set _Z16warp_load_kernelILj256ELj16ELj32ELN6hipcub17WarpLoadAlgorithmE3EdEvPT3_S3_.private_seg_size, 0
	.set _Z16warp_load_kernelILj256ELj16ELj32ELN6hipcub17WarpLoadAlgorithmE3EdEvPT3_S3_.uses_vcc, 1
	.set _Z16warp_load_kernelILj256ELj16ELj32ELN6hipcub17WarpLoadAlgorithmE3EdEvPT3_S3_.uses_flat_scratch, 0
	.set _Z16warp_load_kernelILj256ELj16ELj32ELN6hipcub17WarpLoadAlgorithmE3EdEvPT3_S3_.has_dyn_sized_stack, 0
	.set _Z16warp_load_kernelILj256ELj16ELj32ELN6hipcub17WarpLoadAlgorithmE3EdEvPT3_S3_.has_recursion, 0
	.set _Z16warp_load_kernelILj256ELj16ELj32ELN6hipcub17WarpLoadAlgorithmE3EdEvPT3_S3_.has_indirect_call, 0
	.section	.AMDGPU.csdata,"",@progbits
; Kernel info:
; codeLenInByte = 876
; TotalNumSgprs: 7
; NumVgprs: 45
; ScratchSize: 0
; MemoryBound: 1
; FloatMode: 240
; IeeeMode: 1
; LDSByteSize: 32768 bytes/workgroup (compile time only)
; SGPRBlocks: 0
; VGPRBlocks: 21
; NumSGPRsForWavesPerEU: 7
; NumVGPRsForWavesPerEU: 169
; Occupancy: 8
; WaveLimiterHint : 1
; COMPUTE_PGM_RSRC2:SCRATCH_EN: 0
; COMPUTE_PGM_RSRC2:USER_SGPR: 2
; COMPUTE_PGM_RSRC2:TRAP_HANDLER: 0
; COMPUTE_PGM_RSRC2:TGID_X_EN: 1
; COMPUTE_PGM_RSRC2:TGID_Y_EN: 0
; COMPUTE_PGM_RSRC2:TGID_Z_EN: 0
; COMPUTE_PGM_RSRC2:TIDIG_COMP_CNT: 0
	.section	.text._Z16warp_load_kernelILj256ELj32ELj32ELN6hipcub17WarpLoadAlgorithmE0EdEvPT3_S3_,"axG",@progbits,_Z16warp_load_kernelILj256ELj32ELj32ELN6hipcub17WarpLoadAlgorithmE0EdEvPT3_S3_,comdat
	.protected	_Z16warp_load_kernelILj256ELj32ELj32ELN6hipcub17WarpLoadAlgorithmE0EdEvPT3_S3_ ; -- Begin function _Z16warp_load_kernelILj256ELj32ELj32ELN6hipcub17WarpLoadAlgorithmE0EdEvPT3_S3_
	.globl	_Z16warp_load_kernelILj256ELj32ELj32ELN6hipcub17WarpLoadAlgorithmE0EdEvPT3_S3_
	.p2align	8
	.type	_Z16warp_load_kernelILj256ELj32ELj32ELN6hipcub17WarpLoadAlgorithmE0EdEvPT3_S3_,@function
_Z16warp_load_kernelILj256ELj32ELj32ELN6hipcub17WarpLoadAlgorithmE0EdEvPT3_S3_: ; @_Z16warp_load_kernelILj256ELj32ELj32ELN6hipcub17WarpLoadAlgorithmE0EdEvPT3_S3_
; %bb.0:
	s_load_b128 s[0:3], s[0:1], 0x0
	v_dual_mov_b32 v66, 0 :: v_dual_lshlrev_b32 v1, 5, v0
	s_lshl_b32 s4, ttmp9, 13
	v_mbcnt_lo_u32_b32 v3, -1, 0
	s_delay_alu instid0(VALU_DEP_2) | instskip(NEXT) | instid1(VALU_DEP_3)
	v_and_or_b32 v65, 0x1c00, v1, s4
	v_mov_b32_e32 v68, v66
	s_delay_alu instid0(VALU_DEP_3) | instskip(NEXT) | instid1(VALU_DEP_3)
	v_dual_mov_b32 v70, v66 :: v_dual_lshlrev_b32 v3, 8, v3
	v_lshlrev_b64_e32 v[1:2], 3, v[65:66]
	v_or_b32_e32 v65, s4, v0
	s_delay_alu instid0(VALU_DEP_1) | instskip(SKIP_4) | instid1(VALU_DEP_1)
	v_or_b32_e32 v67, 0x1d00, v65
	v_or_b32_e32 v69, 0x1e00, v65
	v_lshlrev_b64_e32 v[71:72], 3, v[65:66]
	s_wait_kmcnt 0x0
	v_add_co_u32 v1, vcc_lo, s0, v1
	v_add_co_ci_u32_e64 v2, null, s1, v2, vcc_lo
	v_or_b32_e32 v65, 0x1f00, v65
	s_delay_alu instid0(VALU_DEP_3) | instskip(SKIP_1) | instid1(VALU_DEP_3)
	v_add_co_u32 v61, vcc_lo, v1, v3
	s_wait_alu 0xfffd
	v_add_co_ci_u32_e64 v62, null, 0, v2, vcc_lo
	v_lshlrev_b64_e32 v[67:68], 3, v[67:68]
	v_lshlrev_b64_e32 v[69:70], 3, v[69:70]
	v_lshlrev_b64_e32 v[65:66], 3, v[65:66]
	s_clause 0xf
	global_load_b128 v[1:4], v[61:62], off
	global_load_b128 v[5:8], v[61:62], off offset:16
	global_load_b128 v[9:12], v[61:62], off offset:32
	;; [unrolled: 1-line block ×15, first 2 shown]
	v_add_co_u32 v71, vcc_lo, s2, v71
	s_wait_alu 0xfffd
	v_add_co_ci_u32_e64 v72, null, s3, v72, vcc_lo
	v_add_co_u32 v67, vcc_lo, s2, v67
	s_wait_alu 0xfffd
	v_add_co_ci_u32_e64 v68, null, s3, v68, vcc_lo
	;; [unrolled: 3-line block ×4, first 2 shown]
	s_wait_loadcnt 0xf
	s_clause 0x1
	global_store_b64 v[71:72], v[1:2], off
	global_store_b64 v[71:72], v[3:4], off offset:2048
	s_wait_loadcnt 0xe
	s_clause 0x1
	global_store_b64 v[71:72], v[5:6], off offset:4096
	global_store_b64 v[71:72], v[7:8], off offset:6144
	s_wait_loadcnt 0xd
	s_clause 0x1
	global_store_b64 v[71:72], v[9:10], off offset:8192
	;; [unrolled: 4-line block ×14, first 2 shown]
	global_store_b64 v[67:68], v[59:60], off
	s_wait_loadcnt 0x0
	s_clause 0x1
	global_store_b64 v[69:70], v[61:62], off
	global_store_b64 v[65:66], v[63:64], off
	s_endpgm
	.section	.rodata,"a",@progbits
	.p2align	6, 0x0
	.amdhsa_kernel _Z16warp_load_kernelILj256ELj32ELj32ELN6hipcub17WarpLoadAlgorithmE0EdEvPT3_S3_
		.amdhsa_group_segment_fixed_size 0
		.amdhsa_private_segment_fixed_size 0
		.amdhsa_kernarg_size 16
		.amdhsa_user_sgpr_count 2
		.amdhsa_user_sgpr_dispatch_ptr 0
		.amdhsa_user_sgpr_queue_ptr 0
		.amdhsa_user_sgpr_kernarg_segment_ptr 1
		.amdhsa_user_sgpr_dispatch_id 0
		.amdhsa_user_sgpr_private_segment_size 0
		.amdhsa_wavefront_size32 1
		.amdhsa_uses_dynamic_stack 0
		.amdhsa_enable_private_segment 0
		.amdhsa_system_sgpr_workgroup_id_x 1
		.amdhsa_system_sgpr_workgroup_id_y 0
		.amdhsa_system_sgpr_workgroup_id_z 0
		.amdhsa_system_sgpr_workgroup_info 0
		.amdhsa_system_vgpr_workitem_id 0
		.amdhsa_next_free_vgpr 73
		.amdhsa_next_free_sgpr 5
		.amdhsa_reserve_vcc 1
		.amdhsa_float_round_mode_32 0
		.amdhsa_float_round_mode_16_64 0
		.amdhsa_float_denorm_mode_32 3
		.amdhsa_float_denorm_mode_16_64 3
		.amdhsa_fp16_overflow 0
		.amdhsa_workgroup_processor_mode 1
		.amdhsa_memory_ordered 1
		.amdhsa_forward_progress 1
		.amdhsa_inst_pref_size 8
		.amdhsa_round_robin_scheduling 0
		.amdhsa_exception_fp_ieee_invalid_op 0
		.amdhsa_exception_fp_denorm_src 0
		.amdhsa_exception_fp_ieee_div_zero 0
		.amdhsa_exception_fp_ieee_overflow 0
		.amdhsa_exception_fp_ieee_underflow 0
		.amdhsa_exception_fp_ieee_inexact 0
		.amdhsa_exception_int_div_zero 0
	.end_amdhsa_kernel
	.section	.text._Z16warp_load_kernelILj256ELj32ELj32ELN6hipcub17WarpLoadAlgorithmE0EdEvPT3_S3_,"axG",@progbits,_Z16warp_load_kernelILj256ELj32ELj32ELN6hipcub17WarpLoadAlgorithmE0EdEvPT3_S3_,comdat
.Lfunc_end31:
	.size	_Z16warp_load_kernelILj256ELj32ELj32ELN6hipcub17WarpLoadAlgorithmE0EdEvPT3_S3_, .Lfunc_end31-_Z16warp_load_kernelILj256ELj32ELj32ELN6hipcub17WarpLoadAlgorithmE0EdEvPT3_S3_
                                        ; -- End function
	.set _Z16warp_load_kernelILj256ELj32ELj32ELN6hipcub17WarpLoadAlgorithmE0EdEvPT3_S3_.num_vgpr, 73
	.set _Z16warp_load_kernelILj256ELj32ELj32ELN6hipcub17WarpLoadAlgorithmE0EdEvPT3_S3_.num_agpr, 0
	.set _Z16warp_load_kernelILj256ELj32ELj32ELN6hipcub17WarpLoadAlgorithmE0EdEvPT3_S3_.numbered_sgpr, 5
	.set _Z16warp_load_kernelILj256ELj32ELj32ELN6hipcub17WarpLoadAlgorithmE0EdEvPT3_S3_.num_named_barrier, 0
	.set _Z16warp_load_kernelILj256ELj32ELj32ELN6hipcub17WarpLoadAlgorithmE0EdEvPT3_S3_.private_seg_size, 0
	.set _Z16warp_load_kernelILj256ELj32ELj32ELN6hipcub17WarpLoadAlgorithmE0EdEvPT3_S3_.uses_vcc, 1
	.set _Z16warp_load_kernelILj256ELj32ELj32ELN6hipcub17WarpLoadAlgorithmE0EdEvPT3_S3_.uses_flat_scratch, 0
	.set _Z16warp_load_kernelILj256ELj32ELj32ELN6hipcub17WarpLoadAlgorithmE0EdEvPT3_S3_.has_dyn_sized_stack, 0
	.set _Z16warp_load_kernelILj256ELj32ELj32ELN6hipcub17WarpLoadAlgorithmE0EdEvPT3_S3_.has_recursion, 0
	.set _Z16warp_load_kernelILj256ELj32ELj32ELN6hipcub17WarpLoadAlgorithmE0EdEvPT3_S3_.has_indirect_call, 0
	.section	.AMDGPU.csdata,"",@progbits
; Kernel info:
; codeLenInByte = 948
; TotalNumSgprs: 7
; NumVgprs: 73
; ScratchSize: 0
; MemoryBound: 1
; FloatMode: 240
; IeeeMode: 1
; LDSByteSize: 0 bytes/workgroup (compile time only)
; SGPRBlocks: 0
; VGPRBlocks: 9
; NumSGPRsForWavesPerEU: 7
; NumVGPRsForWavesPerEU: 73
; Occupancy: 16
; WaveLimiterHint : 1
; COMPUTE_PGM_RSRC2:SCRATCH_EN: 0
; COMPUTE_PGM_RSRC2:USER_SGPR: 2
; COMPUTE_PGM_RSRC2:TRAP_HANDLER: 0
; COMPUTE_PGM_RSRC2:TGID_X_EN: 1
; COMPUTE_PGM_RSRC2:TGID_Y_EN: 0
; COMPUTE_PGM_RSRC2:TGID_Z_EN: 0
; COMPUTE_PGM_RSRC2:TIDIG_COMP_CNT: 0
	.section	.text._Z16warp_load_kernelILj256ELj32ELj32ELN6hipcub17WarpLoadAlgorithmE1EdEvPT3_S3_,"axG",@progbits,_Z16warp_load_kernelILj256ELj32ELj32ELN6hipcub17WarpLoadAlgorithmE1EdEvPT3_S3_,comdat
	.protected	_Z16warp_load_kernelILj256ELj32ELj32ELN6hipcub17WarpLoadAlgorithmE1EdEvPT3_S3_ ; -- Begin function _Z16warp_load_kernelILj256ELj32ELj32ELN6hipcub17WarpLoadAlgorithmE1EdEvPT3_S3_
	.globl	_Z16warp_load_kernelILj256ELj32ELj32ELN6hipcub17WarpLoadAlgorithmE1EdEvPT3_S3_
	.p2align	8
	.type	_Z16warp_load_kernelILj256ELj32ELj32ELN6hipcub17WarpLoadAlgorithmE1EdEvPT3_S3_,@function
_Z16warp_load_kernelILj256ELj32ELj32ELN6hipcub17WarpLoadAlgorithmE1EdEvPT3_S3_: ; @_Z16warp_load_kernelILj256ELj32ELj32ELN6hipcub17WarpLoadAlgorithmE1EdEvPT3_S3_
; %bb.0:
	s_load_b128 s[0:3], s[0:1], 0x0
	v_dual_mov_b32 v2, 0 :: v_dual_lshlrev_b32 v1, 5, v0
	s_lshl_b32 s4, ttmp9, 13
	v_mbcnt_lo_u32_b32 v5, -1, 0
	s_delay_alu instid0(VALU_DEP_2) | instskip(NEXT) | instid1(VALU_DEP_3)
	v_and_or_b32 v1, 0x1c00, v1, s4
	v_mov_b32_e32 v70, v2
	v_mov_b32_e32 v68, v2
	s_delay_alu instid0(VALU_DEP_3) | instskip(SKIP_2) | instid1(VALU_DEP_2)
	v_lshlrev_b64_e32 v[3:4], 3, v[1:2]
	v_lshlrev_b32_e32 v1, 3, v5
	s_wait_kmcnt 0x0
	v_add_co_u32 v3, vcc_lo, s0, v3
	s_delay_alu instid0(VALU_DEP_1) | instskip(NEXT) | instid1(VALU_DEP_2)
	v_add_co_ci_u32_e64 v4, null, s1, v4, vcc_lo
	v_add_co_u32 v3, vcc_lo, v3, v1
	s_wait_alu 0xfffd
	s_delay_alu instid0(VALU_DEP_2)
	v_add_co_ci_u32_e64 v4, null, 0, v4, vcc_lo
	v_or_b32_e32 v1, s4, v0
	s_clause 0x1f
	global_load_b64 v[5:6], v[3:4], off
	global_load_b64 v[7:8], v[3:4], off offset:256
	global_load_b64 v[9:10], v[3:4], off offset:512
	global_load_b64 v[11:12], v[3:4], off offset:768
	global_load_b64 v[13:14], v[3:4], off offset:1024
	global_load_b64 v[15:16], v[3:4], off offset:1280
	global_load_b64 v[17:18], v[3:4], off offset:1536
	global_load_b64 v[19:20], v[3:4], off offset:1792
	global_load_b64 v[21:22], v[3:4], off offset:2048
	global_load_b64 v[23:24], v[3:4], off offset:2304
	global_load_b64 v[25:26], v[3:4], off offset:2560
	global_load_b64 v[27:28], v[3:4], off offset:2816
	global_load_b64 v[29:30], v[3:4], off offset:3072
	global_load_b64 v[31:32], v[3:4], off offset:3328
	global_load_b64 v[33:34], v[3:4], off offset:3584
	global_load_b64 v[35:36], v[3:4], off offset:3840
	global_load_b64 v[37:38], v[3:4], off offset:4096
	global_load_b64 v[39:40], v[3:4], off offset:4352
	global_load_b64 v[41:42], v[3:4], off offset:4608
	global_load_b64 v[43:44], v[3:4], off offset:4864
	global_load_b64 v[45:46], v[3:4], off offset:5120
	global_load_b64 v[47:48], v[3:4], off offset:5376
	global_load_b64 v[49:50], v[3:4], off offset:5632
	global_load_b64 v[51:52], v[3:4], off offset:5888
	global_load_b64 v[53:54], v[3:4], off offset:6144
	global_load_b64 v[55:56], v[3:4], off offset:6400
	global_load_b64 v[57:58], v[3:4], off offset:6656
	global_load_b64 v[59:60], v[3:4], off offset:6912
	global_load_b64 v[61:62], v[3:4], off offset:7168
	global_load_b64 v[63:64], v[3:4], off offset:7424
	global_load_b64 v[65:66], v[3:4], off offset:7680
	global_load_b64 v[3:4], v[3:4], off offset:7936
	v_or_b32_e32 v67, 0x1d00, v1
	v_or_b32_e32 v69, 0x1e00, v1
	v_lshlrev_b64_e32 v[71:72], 3, v[1:2]
	v_or_b32_e32 v1, 0x1f00, v1
	s_delay_alu instid0(VALU_DEP_4) | instskip(NEXT) | instid1(VALU_DEP_4)
	v_lshlrev_b64_e32 v[67:68], 3, v[67:68]
	v_lshlrev_b64_e32 v[69:70], 3, v[69:70]
	s_delay_alu instid0(VALU_DEP_3)
	v_lshlrev_b64_e32 v[0:1], 3, v[1:2]
	v_add_co_u32 v71, vcc_lo, s2, v71
	s_wait_alu 0xfffd
	v_add_co_ci_u32_e64 v72, null, s3, v72, vcc_lo
	v_add_co_u32 v67, vcc_lo, s2, v67
	s_wait_alu 0xfffd
	v_add_co_ci_u32_e64 v68, null, s3, v68, vcc_lo
	;; [unrolled: 3-line block ×4, first 2 shown]
	s_wait_loadcnt 0x1f
	global_store_b64 v[71:72], v[5:6], off
	s_wait_loadcnt 0x1e
	global_store_b64 v[71:72], v[7:8], off offset:2048
	s_wait_loadcnt 0x1d
	global_store_b64 v[71:72], v[9:10], off offset:4096
	;; [unrolled: 2-line block ×28, first 2 shown]
	s_wait_loadcnt 0x2
	global_store_b64 v[67:68], v[63:64], off
	s_wait_loadcnt 0x1
	global_store_b64 v[69:70], v[65:66], off
	;; [unrolled: 2-line block ×3, first 2 shown]
	s_endpgm
	.section	.rodata,"a",@progbits
	.p2align	6, 0x0
	.amdhsa_kernel _Z16warp_load_kernelILj256ELj32ELj32ELN6hipcub17WarpLoadAlgorithmE1EdEvPT3_S3_
		.amdhsa_group_segment_fixed_size 0
		.amdhsa_private_segment_fixed_size 0
		.amdhsa_kernarg_size 16
		.amdhsa_user_sgpr_count 2
		.amdhsa_user_sgpr_dispatch_ptr 0
		.amdhsa_user_sgpr_queue_ptr 0
		.amdhsa_user_sgpr_kernarg_segment_ptr 1
		.amdhsa_user_sgpr_dispatch_id 0
		.amdhsa_user_sgpr_private_segment_size 0
		.amdhsa_wavefront_size32 1
		.amdhsa_uses_dynamic_stack 0
		.amdhsa_enable_private_segment 0
		.amdhsa_system_sgpr_workgroup_id_x 1
		.amdhsa_system_sgpr_workgroup_id_y 0
		.amdhsa_system_sgpr_workgroup_id_z 0
		.amdhsa_system_sgpr_workgroup_info 0
		.amdhsa_system_vgpr_workitem_id 0
		.amdhsa_next_free_vgpr 73
		.amdhsa_next_free_sgpr 5
		.amdhsa_reserve_vcc 1
		.amdhsa_float_round_mode_32 0
		.amdhsa_float_round_mode_16_64 0
		.amdhsa_float_denorm_mode_32 3
		.amdhsa_float_denorm_mode_16_64 3
		.amdhsa_fp16_overflow 0
		.amdhsa_workgroup_processor_mode 1
		.amdhsa_memory_ordered 1
		.amdhsa_forward_progress 1
		.amdhsa_inst_pref_size 9
		.amdhsa_round_robin_scheduling 0
		.amdhsa_exception_fp_ieee_invalid_op 0
		.amdhsa_exception_fp_denorm_src 0
		.amdhsa_exception_fp_ieee_div_zero 0
		.amdhsa_exception_fp_ieee_overflow 0
		.amdhsa_exception_fp_ieee_underflow 0
		.amdhsa_exception_fp_ieee_inexact 0
		.amdhsa_exception_int_div_zero 0
	.end_amdhsa_kernel
	.section	.text._Z16warp_load_kernelILj256ELj32ELj32ELN6hipcub17WarpLoadAlgorithmE1EdEvPT3_S3_,"axG",@progbits,_Z16warp_load_kernelILj256ELj32ELj32ELN6hipcub17WarpLoadAlgorithmE1EdEvPT3_S3_,comdat
.Lfunc_end32:
	.size	_Z16warp_load_kernelILj256ELj32ELj32ELN6hipcub17WarpLoadAlgorithmE1EdEvPT3_S3_, .Lfunc_end32-_Z16warp_load_kernelILj256ELj32ELj32ELN6hipcub17WarpLoadAlgorithmE1EdEvPT3_S3_
                                        ; -- End function
	.set _Z16warp_load_kernelILj256ELj32ELj32ELN6hipcub17WarpLoadAlgorithmE1EdEvPT3_S3_.num_vgpr, 73
	.set _Z16warp_load_kernelILj256ELj32ELj32ELN6hipcub17WarpLoadAlgorithmE1EdEvPT3_S3_.num_agpr, 0
	.set _Z16warp_load_kernelILj256ELj32ELj32ELN6hipcub17WarpLoadAlgorithmE1EdEvPT3_S3_.numbered_sgpr, 5
	.set _Z16warp_load_kernelILj256ELj32ELj32ELN6hipcub17WarpLoadAlgorithmE1EdEvPT3_S3_.num_named_barrier, 0
	.set _Z16warp_load_kernelILj256ELj32ELj32ELN6hipcub17WarpLoadAlgorithmE1EdEvPT3_S3_.private_seg_size, 0
	.set _Z16warp_load_kernelILj256ELj32ELj32ELN6hipcub17WarpLoadAlgorithmE1EdEvPT3_S3_.uses_vcc, 1
	.set _Z16warp_load_kernelILj256ELj32ELj32ELN6hipcub17WarpLoadAlgorithmE1EdEvPT3_S3_.uses_flat_scratch, 0
	.set _Z16warp_load_kernelILj256ELj32ELj32ELN6hipcub17WarpLoadAlgorithmE1EdEvPT3_S3_.has_dyn_sized_stack, 0
	.set _Z16warp_load_kernelILj256ELj32ELj32ELN6hipcub17WarpLoadAlgorithmE1EdEvPT3_S3_.has_recursion, 0
	.set _Z16warp_load_kernelILj256ELj32ELj32ELN6hipcub17WarpLoadAlgorithmE1EdEvPT3_S3_.has_indirect_call, 0
	.section	.AMDGPU.csdata,"",@progbits
; Kernel info:
; codeLenInByte = 1148
; TotalNumSgprs: 7
; NumVgprs: 73
; ScratchSize: 0
; MemoryBound: 1
; FloatMode: 240
; IeeeMode: 1
; LDSByteSize: 0 bytes/workgroup (compile time only)
; SGPRBlocks: 0
; VGPRBlocks: 9
; NumSGPRsForWavesPerEU: 7
; NumVGPRsForWavesPerEU: 73
; Occupancy: 16
; WaveLimiterHint : 1
; COMPUTE_PGM_RSRC2:SCRATCH_EN: 0
; COMPUTE_PGM_RSRC2:USER_SGPR: 2
; COMPUTE_PGM_RSRC2:TRAP_HANDLER: 0
; COMPUTE_PGM_RSRC2:TGID_X_EN: 1
; COMPUTE_PGM_RSRC2:TGID_Y_EN: 0
; COMPUTE_PGM_RSRC2:TGID_Z_EN: 0
; COMPUTE_PGM_RSRC2:TIDIG_COMP_CNT: 0
	.section	.text._Z16warp_load_kernelILj256ELj32ELj32ELN6hipcub17WarpLoadAlgorithmE2EdEvPT3_S3_,"axG",@progbits,_Z16warp_load_kernelILj256ELj32ELj32ELN6hipcub17WarpLoadAlgorithmE2EdEvPT3_S3_,comdat
	.protected	_Z16warp_load_kernelILj256ELj32ELj32ELN6hipcub17WarpLoadAlgorithmE2EdEvPT3_S3_ ; -- Begin function _Z16warp_load_kernelILj256ELj32ELj32ELN6hipcub17WarpLoadAlgorithmE2EdEvPT3_S3_
	.globl	_Z16warp_load_kernelILj256ELj32ELj32ELN6hipcub17WarpLoadAlgorithmE2EdEvPT3_S3_
	.p2align	8
	.type	_Z16warp_load_kernelILj256ELj32ELj32ELN6hipcub17WarpLoadAlgorithmE2EdEvPT3_S3_,@function
_Z16warp_load_kernelILj256ELj32ELj32ELN6hipcub17WarpLoadAlgorithmE2EdEvPT3_S3_: ; @_Z16warp_load_kernelILj256ELj32ELj32ELN6hipcub17WarpLoadAlgorithmE2EdEvPT3_S3_
; %bb.0:
	s_load_b128 s[0:3], s[0:1], 0x0
	v_dual_mov_b32 v66, 0 :: v_dual_lshlrev_b32 v1, 5, v0
	s_lshl_b32 s4, ttmp9, 13
	v_mbcnt_lo_u32_b32 v3, -1, 0
	s_delay_alu instid0(VALU_DEP_2) | instskip(NEXT) | instid1(VALU_DEP_3)
	v_and_or_b32 v65, 0x1c00, v1, s4
	v_mov_b32_e32 v68, v66
	s_delay_alu instid0(VALU_DEP_3) | instskip(NEXT) | instid1(VALU_DEP_3)
	v_dual_mov_b32 v70, v66 :: v_dual_lshlrev_b32 v3, 8, v3
	v_lshlrev_b64_e32 v[1:2], 3, v[65:66]
	v_or_b32_e32 v65, s4, v0
	s_delay_alu instid0(VALU_DEP_1) | instskip(SKIP_4) | instid1(VALU_DEP_1)
	v_or_b32_e32 v67, 0x1d00, v65
	v_or_b32_e32 v69, 0x1e00, v65
	v_lshlrev_b64_e32 v[71:72], 3, v[65:66]
	s_wait_kmcnt 0x0
	v_add_co_u32 v1, vcc_lo, s0, v1
	v_add_co_ci_u32_e64 v2, null, s1, v2, vcc_lo
	v_or_b32_e32 v65, 0x1f00, v65
	s_delay_alu instid0(VALU_DEP_3) | instskip(SKIP_1) | instid1(VALU_DEP_3)
	v_add_co_u32 v61, vcc_lo, v1, v3
	s_wait_alu 0xfffd
	v_add_co_ci_u32_e64 v62, null, 0, v2, vcc_lo
	v_lshlrev_b64_e32 v[67:68], 3, v[67:68]
	v_lshlrev_b64_e32 v[69:70], 3, v[69:70]
	;; [unrolled: 1-line block ×3, first 2 shown]
	s_clause 0xf
	global_load_b128 v[1:4], v[61:62], off
	global_load_b128 v[5:8], v[61:62], off offset:16
	global_load_b128 v[9:12], v[61:62], off offset:32
	;; [unrolled: 1-line block ×15, first 2 shown]
	v_add_co_u32 v71, vcc_lo, s2, v71
	s_wait_alu 0xfffd
	v_add_co_ci_u32_e64 v72, null, s3, v72, vcc_lo
	v_add_co_u32 v67, vcc_lo, s2, v67
	s_wait_alu 0xfffd
	v_add_co_ci_u32_e64 v68, null, s3, v68, vcc_lo
	;; [unrolled: 3-line block ×4, first 2 shown]
	s_wait_loadcnt 0xf
	s_clause 0x1
	global_store_b64 v[71:72], v[1:2], off
	global_store_b64 v[71:72], v[3:4], off offset:2048
	s_wait_loadcnt 0xe
	s_clause 0x1
	global_store_b64 v[71:72], v[5:6], off offset:4096
	global_store_b64 v[71:72], v[7:8], off offset:6144
	s_wait_loadcnt 0xd
	s_clause 0x1
	global_store_b64 v[71:72], v[9:10], off offset:8192
	;; [unrolled: 4-line block ×14, first 2 shown]
	global_store_b64 v[67:68], v[59:60], off
	s_wait_loadcnt 0x0
	s_clause 0x1
	global_store_b64 v[69:70], v[61:62], off
	global_store_b64 v[65:66], v[63:64], off
	s_endpgm
	.section	.rodata,"a",@progbits
	.p2align	6, 0x0
	.amdhsa_kernel _Z16warp_load_kernelILj256ELj32ELj32ELN6hipcub17WarpLoadAlgorithmE2EdEvPT3_S3_
		.amdhsa_group_segment_fixed_size 0
		.amdhsa_private_segment_fixed_size 0
		.amdhsa_kernarg_size 16
		.amdhsa_user_sgpr_count 2
		.amdhsa_user_sgpr_dispatch_ptr 0
		.amdhsa_user_sgpr_queue_ptr 0
		.amdhsa_user_sgpr_kernarg_segment_ptr 1
		.amdhsa_user_sgpr_dispatch_id 0
		.amdhsa_user_sgpr_private_segment_size 0
		.amdhsa_wavefront_size32 1
		.amdhsa_uses_dynamic_stack 0
		.amdhsa_enable_private_segment 0
		.amdhsa_system_sgpr_workgroup_id_x 1
		.amdhsa_system_sgpr_workgroup_id_y 0
		.amdhsa_system_sgpr_workgroup_id_z 0
		.amdhsa_system_sgpr_workgroup_info 0
		.amdhsa_system_vgpr_workitem_id 0
		.amdhsa_next_free_vgpr 73
		.amdhsa_next_free_sgpr 5
		.amdhsa_reserve_vcc 1
		.amdhsa_float_round_mode_32 0
		.amdhsa_float_round_mode_16_64 0
		.amdhsa_float_denorm_mode_32 3
		.amdhsa_float_denorm_mode_16_64 3
		.amdhsa_fp16_overflow 0
		.amdhsa_workgroup_processor_mode 1
		.amdhsa_memory_ordered 1
		.amdhsa_forward_progress 1
		.amdhsa_inst_pref_size 8
		.amdhsa_round_robin_scheduling 0
		.amdhsa_exception_fp_ieee_invalid_op 0
		.amdhsa_exception_fp_denorm_src 0
		.amdhsa_exception_fp_ieee_div_zero 0
		.amdhsa_exception_fp_ieee_overflow 0
		.amdhsa_exception_fp_ieee_underflow 0
		.amdhsa_exception_fp_ieee_inexact 0
		.amdhsa_exception_int_div_zero 0
	.end_amdhsa_kernel
	.section	.text._Z16warp_load_kernelILj256ELj32ELj32ELN6hipcub17WarpLoadAlgorithmE2EdEvPT3_S3_,"axG",@progbits,_Z16warp_load_kernelILj256ELj32ELj32ELN6hipcub17WarpLoadAlgorithmE2EdEvPT3_S3_,comdat
.Lfunc_end33:
	.size	_Z16warp_load_kernelILj256ELj32ELj32ELN6hipcub17WarpLoadAlgorithmE2EdEvPT3_S3_, .Lfunc_end33-_Z16warp_load_kernelILj256ELj32ELj32ELN6hipcub17WarpLoadAlgorithmE2EdEvPT3_S3_
                                        ; -- End function
	.set _Z16warp_load_kernelILj256ELj32ELj32ELN6hipcub17WarpLoadAlgorithmE2EdEvPT3_S3_.num_vgpr, 73
	.set _Z16warp_load_kernelILj256ELj32ELj32ELN6hipcub17WarpLoadAlgorithmE2EdEvPT3_S3_.num_agpr, 0
	.set _Z16warp_load_kernelILj256ELj32ELj32ELN6hipcub17WarpLoadAlgorithmE2EdEvPT3_S3_.numbered_sgpr, 5
	.set _Z16warp_load_kernelILj256ELj32ELj32ELN6hipcub17WarpLoadAlgorithmE2EdEvPT3_S3_.num_named_barrier, 0
	.set _Z16warp_load_kernelILj256ELj32ELj32ELN6hipcub17WarpLoadAlgorithmE2EdEvPT3_S3_.private_seg_size, 0
	.set _Z16warp_load_kernelILj256ELj32ELj32ELN6hipcub17WarpLoadAlgorithmE2EdEvPT3_S3_.uses_vcc, 1
	.set _Z16warp_load_kernelILj256ELj32ELj32ELN6hipcub17WarpLoadAlgorithmE2EdEvPT3_S3_.uses_flat_scratch, 0
	.set _Z16warp_load_kernelILj256ELj32ELj32ELN6hipcub17WarpLoadAlgorithmE2EdEvPT3_S3_.has_dyn_sized_stack, 0
	.set _Z16warp_load_kernelILj256ELj32ELj32ELN6hipcub17WarpLoadAlgorithmE2EdEvPT3_S3_.has_recursion, 0
	.set _Z16warp_load_kernelILj256ELj32ELj32ELN6hipcub17WarpLoadAlgorithmE2EdEvPT3_S3_.has_indirect_call, 0
	.section	.AMDGPU.csdata,"",@progbits
; Kernel info:
; codeLenInByte = 948
; TotalNumSgprs: 7
; NumVgprs: 73
; ScratchSize: 0
; MemoryBound: 1
; FloatMode: 240
; IeeeMode: 1
; LDSByteSize: 0 bytes/workgroup (compile time only)
; SGPRBlocks: 0
; VGPRBlocks: 9
; NumSGPRsForWavesPerEU: 7
; NumVGPRsForWavesPerEU: 73
; Occupancy: 16
; WaveLimiterHint : 1
; COMPUTE_PGM_RSRC2:SCRATCH_EN: 0
; COMPUTE_PGM_RSRC2:USER_SGPR: 2
; COMPUTE_PGM_RSRC2:TRAP_HANDLER: 0
; COMPUTE_PGM_RSRC2:TGID_X_EN: 1
; COMPUTE_PGM_RSRC2:TGID_Y_EN: 0
; COMPUTE_PGM_RSRC2:TGID_Z_EN: 0
; COMPUTE_PGM_RSRC2:TIDIG_COMP_CNT: 0
	.section	.text._Z16warp_load_kernelILj256ELj64ELj32ELN6hipcub17WarpLoadAlgorithmE0EdEvPT3_S3_,"axG",@progbits,_Z16warp_load_kernelILj256ELj64ELj32ELN6hipcub17WarpLoadAlgorithmE0EdEvPT3_S3_,comdat
	.protected	_Z16warp_load_kernelILj256ELj64ELj32ELN6hipcub17WarpLoadAlgorithmE0EdEvPT3_S3_ ; -- Begin function _Z16warp_load_kernelILj256ELj64ELj32ELN6hipcub17WarpLoadAlgorithmE0EdEvPT3_S3_
	.globl	_Z16warp_load_kernelILj256ELj64ELj32ELN6hipcub17WarpLoadAlgorithmE0EdEvPT3_S3_
	.p2align	8
	.type	_Z16warp_load_kernelILj256ELj64ELj32ELN6hipcub17WarpLoadAlgorithmE0EdEvPT3_S3_,@function
_Z16warp_load_kernelILj256ELj64ELj32ELN6hipcub17WarpLoadAlgorithmE0EdEvPT3_S3_: ; @_Z16warp_load_kernelILj256ELj64ELj32ELN6hipcub17WarpLoadAlgorithmE0EdEvPT3_S3_
; %bb.0:
	s_load_b128 s[0:3], s[0:1], 0x0
	v_dual_mov_b32 v130, 0 :: v_dual_lshlrev_b32 v1, 6, v0
	s_lshl_b32 s4, ttmp9, 14
	v_mbcnt_lo_u32_b32 v3, -1, 0
	s_delay_alu instid0(VALU_DEP_2) | instskip(NEXT) | instid1(VALU_DEP_3)
	v_and_or_b32 v129, 0x3800, v1, s4
	v_mov_b32_e32 v132, v130
	s_delay_alu instid0(VALU_DEP_3) | instskip(NEXT) | instid1(VALU_DEP_3)
	v_dual_mov_b32 v134, v130 :: v_dual_lshlrev_b32 v3, 9, v3
	v_lshlrev_b64_e32 v[1:2], 3, v[129:130]
	v_or_b32_e32 v129, s4, v0
	s_delay_alu instid0(VALU_DEP_1) | instskip(SKIP_4) | instid1(VALU_DEP_1)
	v_or_b32_e32 v131, 0x3d00, v129
	v_or_b32_e32 v133, 0x3e00, v129
	v_lshlrev_b64_e32 v[135:136], 3, v[129:130]
	s_wait_kmcnt 0x0
	v_add_co_u32 v1, vcc_lo, s0, v1
	v_add_co_ci_u32_e64 v2, null, s1, v2, vcc_lo
	v_or_b32_e32 v129, 0x3f00, v129
	s_delay_alu instid0(VALU_DEP_3) | instskip(SKIP_1) | instid1(VALU_DEP_3)
	v_add_co_u32 v125, vcc_lo, v1, v3
	s_wait_alu 0xfffd
	v_add_co_ci_u32_e64 v126, null, 0, v2, vcc_lo
	v_lshlrev_b64_e32 v[131:132], 3, v[131:132]
	v_lshlrev_b64_e32 v[133:134], 3, v[133:134]
	;; [unrolled: 1-line block ×3, first 2 shown]
	s_clause 0x1f
	global_load_b128 v[1:4], v[125:126], off
	global_load_b128 v[5:8], v[125:126], off offset:16
	global_load_b128 v[9:12], v[125:126], off offset:32
	;; [unrolled: 1-line block ×31, first 2 shown]
	v_add_co_u32 v135, vcc_lo, s2, v135
	s_wait_alu 0xfffd
	v_add_co_ci_u32_e64 v136, null, s3, v136, vcc_lo
	v_add_co_u32 v131, vcc_lo, s2, v131
	s_wait_alu 0xfffd
	v_add_co_ci_u32_e64 v132, null, s3, v132, vcc_lo
	;; [unrolled: 3-line block ×4, first 2 shown]
	s_wait_loadcnt 0x1f
	s_clause 0x1
	global_store_b64 v[135:136], v[1:2], off
	global_store_b64 v[135:136], v[3:4], off offset:2048
	s_wait_loadcnt 0x1e
	s_clause 0x1
	global_store_b64 v[135:136], v[5:6], off offset:4096
	global_store_b64 v[135:136], v[7:8], off offset:6144
	s_wait_loadcnt 0x1d
	s_clause 0x1
	global_store_b64 v[135:136], v[9:10], off offset:8192
	;; [unrolled: 4-line block ×30, first 2 shown]
	global_store_b64 v[131:132], v[123:124], off
	s_wait_loadcnt 0x0
	s_clause 0x1
	global_store_b64 v[133:134], v[125:126], off
	global_store_b64 v[129:130], v[127:128], off
	s_nop 0
	s_sendmsg sendmsg(MSG_DEALLOC_VGPRS)
	s_endpgm
	.section	.rodata,"a",@progbits
	.p2align	6, 0x0
	.amdhsa_kernel _Z16warp_load_kernelILj256ELj64ELj32ELN6hipcub17WarpLoadAlgorithmE0EdEvPT3_S3_
		.amdhsa_group_segment_fixed_size 0
		.amdhsa_private_segment_fixed_size 0
		.amdhsa_kernarg_size 16
		.amdhsa_user_sgpr_count 2
		.amdhsa_user_sgpr_dispatch_ptr 0
		.amdhsa_user_sgpr_queue_ptr 0
		.amdhsa_user_sgpr_kernarg_segment_ptr 1
		.amdhsa_user_sgpr_dispatch_id 0
		.amdhsa_user_sgpr_private_segment_size 0
		.amdhsa_wavefront_size32 1
		.amdhsa_uses_dynamic_stack 0
		.amdhsa_enable_private_segment 0
		.amdhsa_system_sgpr_workgroup_id_x 1
		.amdhsa_system_sgpr_workgroup_id_y 0
		.amdhsa_system_sgpr_workgroup_id_z 0
		.amdhsa_system_sgpr_workgroup_info 0
		.amdhsa_system_vgpr_workitem_id 0
		.amdhsa_next_free_vgpr 137
		.amdhsa_next_free_sgpr 5
		.amdhsa_reserve_vcc 1
		.amdhsa_float_round_mode_32 0
		.amdhsa_float_round_mode_16_64 0
		.amdhsa_float_denorm_mode_32 3
		.amdhsa_float_denorm_mode_16_64 3
		.amdhsa_fp16_overflow 0
		.amdhsa_workgroup_processor_mode 1
		.amdhsa_memory_ordered 1
		.amdhsa_forward_progress 1
		.amdhsa_inst_pref_size 13
		.amdhsa_round_robin_scheduling 0
		.amdhsa_exception_fp_ieee_invalid_op 0
		.amdhsa_exception_fp_denorm_src 0
		.amdhsa_exception_fp_ieee_div_zero 0
		.amdhsa_exception_fp_ieee_overflow 0
		.amdhsa_exception_fp_ieee_underflow 0
		.amdhsa_exception_fp_ieee_inexact 0
		.amdhsa_exception_int_div_zero 0
	.end_amdhsa_kernel
	.section	.text._Z16warp_load_kernelILj256ELj64ELj32ELN6hipcub17WarpLoadAlgorithmE0EdEvPT3_S3_,"axG",@progbits,_Z16warp_load_kernelILj256ELj64ELj32ELN6hipcub17WarpLoadAlgorithmE0EdEvPT3_S3_,comdat
.Lfunc_end34:
	.size	_Z16warp_load_kernelILj256ELj64ELj32ELN6hipcub17WarpLoadAlgorithmE0EdEvPT3_S3_, .Lfunc_end34-_Z16warp_load_kernelILj256ELj64ELj32ELN6hipcub17WarpLoadAlgorithmE0EdEvPT3_S3_
                                        ; -- End function
	.set _Z16warp_load_kernelILj256ELj64ELj32ELN6hipcub17WarpLoadAlgorithmE0EdEvPT3_S3_.num_vgpr, 137
	.set _Z16warp_load_kernelILj256ELj64ELj32ELN6hipcub17WarpLoadAlgorithmE0EdEvPT3_S3_.num_agpr, 0
	.set _Z16warp_load_kernelILj256ELj64ELj32ELN6hipcub17WarpLoadAlgorithmE0EdEvPT3_S3_.numbered_sgpr, 5
	.set _Z16warp_load_kernelILj256ELj64ELj32ELN6hipcub17WarpLoadAlgorithmE0EdEvPT3_S3_.num_named_barrier, 0
	.set _Z16warp_load_kernelILj256ELj64ELj32ELN6hipcub17WarpLoadAlgorithmE0EdEvPT3_S3_.private_seg_size, 0
	.set _Z16warp_load_kernelILj256ELj64ELj32ELN6hipcub17WarpLoadAlgorithmE0EdEvPT3_S3_.uses_vcc, 1
	.set _Z16warp_load_kernelILj256ELj64ELj32ELN6hipcub17WarpLoadAlgorithmE0EdEvPT3_S3_.uses_flat_scratch, 0
	.set _Z16warp_load_kernelILj256ELj64ELj32ELN6hipcub17WarpLoadAlgorithmE0EdEvPT3_S3_.has_dyn_sized_stack, 0
	.set _Z16warp_load_kernelILj256ELj64ELj32ELN6hipcub17WarpLoadAlgorithmE0EdEvPT3_S3_.has_recursion, 0
	.set _Z16warp_load_kernelILj256ELj64ELj32ELN6hipcub17WarpLoadAlgorithmE0EdEvPT3_S3_.has_indirect_call, 0
	.section	.AMDGPU.csdata,"",@progbits
; Kernel info:
; codeLenInByte = 1660
; TotalNumSgprs: 7
; NumVgprs: 137
; ScratchSize: 0
; MemoryBound: 1
; FloatMode: 240
; IeeeMode: 1
; LDSByteSize: 0 bytes/workgroup (compile time only)
; SGPRBlocks: 0
; VGPRBlocks: 17
; NumSGPRsForWavesPerEU: 7
; NumVGPRsForWavesPerEU: 137
; Occupancy: 10
; WaveLimiterHint : 1
; COMPUTE_PGM_RSRC2:SCRATCH_EN: 0
; COMPUTE_PGM_RSRC2:USER_SGPR: 2
; COMPUTE_PGM_RSRC2:TRAP_HANDLER: 0
; COMPUTE_PGM_RSRC2:TGID_X_EN: 1
; COMPUTE_PGM_RSRC2:TGID_Y_EN: 0
; COMPUTE_PGM_RSRC2:TGID_Z_EN: 0
; COMPUTE_PGM_RSRC2:TIDIG_COMP_CNT: 0
	.section	.text._Z16warp_load_kernelILj256ELj64ELj32ELN6hipcub17WarpLoadAlgorithmE1EdEvPT3_S3_,"axG",@progbits,_Z16warp_load_kernelILj256ELj64ELj32ELN6hipcub17WarpLoadAlgorithmE1EdEvPT3_S3_,comdat
	.protected	_Z16warp_load_kernelILj256ELj64ELj32ELN6hipcub17WarpLoadAlgorithmE1EdEvPT3_S3_ ; -- Begin function _Z16warp_load_kernelILj256ELj64ELj32ELN6hipcub17WarpLoadAlgorithmE1EdEvPT3_S3_
	.globl	_Z16warp_load_kernelILj256ELj64ELj32ELN6hipcub17WarpLoadAlgorithmE1EdEvPT3_S3_
	.p2align	8
	.type	_Z16warp_load_kernelILj256ELj64ELj32ELN6hipcub17WarpLoadAlgorithmE1EdEvPT3_S3_,@function
_Z16warp_load_kernelILj256ELj64ELj32ELN6hipcub17WarpLoadAlgorithmE1EdEvPT3_S3_: ; @_Z16warp_load_kernelILj256ELj64ELj32ELN6hipcub17WarpLoadAlgorithmE1EdEvPT3_S3_
; %bb.0:
	s_load_b128 s[0:3], s[0:1], 0x0
	v_dual_mov_b32 v2, 0 :: v_dual_lshlrev_b32 v1, 6, v0
	s_lshl_b32 s4, ttmp9, 14
	v_mbcnt_lo_u32_b32 v5, -1, 0
	s_delay_alu instid0(VALU_DEP_2) | instskip(NEXT) | instid1(VALU_DEP_3)
	v_and_or_b32 v1, 0x3800, v1, s4
	v_mov_b32_e32 v134, v2
	v_mov_b32_e32 v132, v2
	s_delay_alu instid0(VALU_DEP_3) | instskip(SKIP_2) | instid1(VALU_DEP_2)
	v_lshlrev_b64_e32 v[3:4], 3, v[1:2]
	v_lshlrev_b32_e32 v1, 3, v5
	s_wait_kmcnt 0x0
	v_add_co_u32 v3, vcc_lo, s0, v3
	s_delay_alu instid0(VALU_DEP_1) | instskip(NEXT) | instid1(VALU_DEP_2)
	v_add_co_ci_u32_e64 v4, null, s1, v4, vcc_lo
	v_add_co_u32 v3, vcc_lo, v3, v1
	s_wait_alu 0xfffd
	s_delay_alu instid0(VALU_DEP_2)
	v_add_co_ci_u32_e64 v4, null, 0, v4, vcc_lo
	v_or_b32_e32 v1, s4, v0
	s_clause 0x1f
	global_load_b64 v[5:6], v[3:4], off
	global_load_b64 v[7:8], v[3:4], off offset:256
	global_load_b64 v[9:10], v[3:4], off offset:512
	;; [unrolled: 1-line block ×31, first 2 shown]
	s_clause 0x1f
	global_load_b64 v[69:70], v[3:4], off offset:8192
	global_load_b64 v[71:72], v[3:4], off offset:8448
	;; [unrolled: 1-line block ×32, first 2 shown]
	v_or_b32_e32 v131, 0x3d00, v1
	v_or_b32_e32 v133, 0x3e00, v1
	v_lshlrev_b64_e32 v[135:136], 3, v[1:2]
	v_or_b32_e32 v1, 0x3f00, v1
	s_delay_alu instid0(VALU_DEP_4) | instskip(NEXT) | instid1(VALU_DEP_4)
	v_lshlrev_b64_e32 v[131:132], 3, v[131:132]
	v_lshlrev_b64_e32 v[133:134], 3, v[133:134]
	s_delay_alu instid0(VALU_DEP_3)
	v_lshlrev_b64_e32 v[0:1], 3, v[1:2]
	v_add_co_u32 v135, vcc_lo, s2, v135
	s_wait_alu 0xfffd
	v_add_co_ci_u32_e64 v136, null, s3, v136, vcc_lo
	v_add_co_u32 v131, vcc_lo, s2, v131
	s_wait_alu 0xfffd
	v_add_co_ci_u32_e64 v132, null, s3, v132, vcc_lo
	;; [unrolled: 3-line block ×4, first 2 shown]
	s_wait_loadcnt 0x3e
	s_clause 0x1
	global_store_b64 v[135:136], v[5:6], off
	global_store_b64 v[135:136], v[7:8], off offset:2048
	s_wait_loadcnt 0x3d
	global_store_b64 v[135:136], v[9:10], off offset:4096
	s_wait_loadcnt 0x3c
	;; [unrolled: 2-line block ×60, first 2 shown]
	global_store_b64 v[131:132], v[127:128], off
	s_wait_loadcnt 0x1
	global_store_b64 v[133:134], v[129:130], off
	s_wait_loadcnt 0x0
	global_store_b64 v[0:1], v[3:4], off
	s_nop 0
	s_sendmsg sendmsg(MSG_DEALLOC_VGPRS)
	s_endpgm
	.section	.rodata,"a",@progbits
	.p2align	6, 0x0
	.amdhsa_kernel _Z16warp_load_kernelILj256ELj64ELj32ELN6hipcub17WarpLoadAlgorithmE1EdEvPT3_S3_
		.amdhsa_group_segment_fixed_size 0
		.amdhsa_private_segment_fixed_size 0
		.amdhsa_kernarg_size 16
		.amdhsa_user_sgpr_count 2
		.amdhsa_user_sgpr_dispatch_ptr 0
		.amdhsa_user_sgpr_queue_ptr 0
		.amdhsa_user_sgpr_kernarg_segment_ptr 1
		.amdhsa_user_sgpr_dispatch_id 0
		.amdhsa_user_sgpr_private_segment_size 0
		.amdhsa_wavefront_size32 1
		.amdhsa_uses_dynamic_stack 0
		.amdhsa_enable_private_segment 0
		.amdhsa_system_sgpr_workgroup_id_x 1
		.amdhsa_system_sgpr_workgroup_id_y 0
		.amdhsa_system_sgpr_workgroup_id_z 0
		.amdhsa_system_sgpr_workgroup_info 0
		.amdhsa_system_vgpr_workitem_id 0
		.amdhsa_next_free_vgpr 137
		.amdhsa_next_free_sgpr 5
		.amdhsa_reserve_vcc 1
		.amdhsa_float_round_mode_32 0
		.amdhsa_float_round_mode_16_64 0
		.amdhsa_float_denorm_mode_32 3
		.amdhsa_float_denorm_mode_16_64 3
		.amdhsa_fp16_overflow 0
		.amdhsa_workgroup_processor_mode 1
		.amdhsa_memory_ordered 1
		.amdhsa_forward_progress 1
		.amdhsa_inst_pref_size 17
		.amdhsa_round_robin_scheduling 0
		.amdhsa_exception_fp_ieee_invalid_op 0
		.amdhsa_exception_fp_denorm_src 0
		.amdhsa_exception_fp_ieee_div_zero 0
		.amdhsa_exception_fp_ieee_overflow 0
		.amdhsa_exception_fp_ieee_underflow 0
		.amdhsa_exception_fp_ieee_inexact 0
		.amdhsa_exception_int_div_zero 0
	.end_amdhsa_kernel
	.section	.text._Z16warp_load_kernelILj256ELj64ELj32ELN6hipcub17WarpLoadAlgorithmE1EdEvPT3_S3_,"axG",@progbits,_Z16warp_load_kernelILj256ELj64ELj32ELN6hipcub17WarpLoadAlgorithmE1EdEvPT3_S3_,comdat
.Lfunc_end35:
	.size	_Z16warp_load_kernelILj256ELj64ELj32ELN6hipcub17WarpLoadAlgorithmE1EdEvPT3_S3_, .Lfunc_end35-_Z16warp_load_kernelILj256ELj64ELj32ELN6hipcub17WarpLoadAlgorithmE1EdEvPT3_S3_
                                        ; -- End function
	.set _Z16warp_load_kernelILj256ELj64ELj32ELN6hipcub17WarpLoadAlgorithmE1EdEvPT3_S3_.num_vgpr, 137
	.set _Z16warp_load_kernelILj256ELj64ELj32ELN6hipcub17WarpLoadAlgorithmE1EdEvPT3_S3_.num_agpr, 0
	.set _Z16warp_load_kernelILj256ELj64ELj32ELN6hipcub17WarpLoadAlgorithmE1EdEvPT3_S3_.numbered_sgpr, 5
	.set _Z16warp_load_kernelILj256ELj64ELj32ELN6hipcub17WarpLoadAlgorithmE1EdEvPT3_S3_.num_named_barrier, 0
	.set _Z16warp_load_kernelILj256ELj64ELj32ELN6hipcub17WarpLoadAlgorithmE1EdEvPT3_S3_.private_seg_size, 0
	.set _Z16warp_load_kernelILj256ELj64ELj32ELN6hipcub17WarpLoadAlgorithmE1EdEvPT3_S3_.uses_vcc, 1
	.set _Z16warp_load_kernelILj256ELj64ELj32ELN6hipcub17WarpLoadAlgorithmE1EdEvPT3_S3_.uses_flat_scratch, 0
	.set _Z16warp_load_kernelILj256ELj64ELj32ELN6hipcub17WarpLoadAlgorithmE1EdEvPT3_S3_.has_dyn_sized_stack, 0
	.set _Z16warp_load_kernelILj256ELj64ELj32ELN6hipcub17WarpLoadAlgorithmE1EdEvPT3_S3_.has_recursion, 0
	.set _Z16warp_load_kernelILj256ELj64ELj32ELN6hipcub17WarpLoadAlgorithmE1EdEvPT3_S3_.has_indirect_call, 0
	.section	.AMDGPU.csdata,"",@progbits
; Kernel info:
; codeLenInByte = 2056
; TotalNumSgprs: 7
; NumVgprs: 137
; ScratchSize: 0
; MemoryBound: 1
; FloatMode: 240
; IeeeMode: 1
; LDSByteSize: 0 bytes/workgroup (compile time only)
; SGPRBlocks: 0
; VGPRBlocks: 17
; NumSGPRsForWavesPerEU: 7
; NumVGPRsForWavesPerEU: 137
; Occupancy: 10
; WaveLimiterHint : 1
; COMPUTE_PGM_RSRC2:SCRATCH_EN: 0
; COMPUTE_PGM_RSRC2:USER_SGPR: 2
; COMPUTE_PGM_RSRC2:TRAP_HANDLER: 0
; COMPUTE_PGM_RSRC2:TGID_X_EN: 1
; COMPUTE_PGM_RSRC2:TGID_Y_EN: 0
; COMPUTE_PGM_RSRC2:TGID_Z_EN: 0
; COMPUTE_PGM_RSRC2:TIDIG_COMP_CNT: 0
	.section	.text._Z16warp_load_kernelILj256ELj64ELj32ELN6hipcub17WarpLoadAlgorithmE2EdEvPT3_S3_,"axG",@progbits,_Z16warp_load_kernelILj256ELj64ELj32ELN6hipcub17WarpLoadAlgorithmE2EdEvPT3_S3_,comdat
	.protected	_Z16warp_load_kernelILj256ELj64ELj32ELN6hipcub17WarpLoadAlgorithmE2EdEvPT3_S3_ ; -- Begin function _Z16warp_load_kernelILj256ELj64ELj32ELN6hipcub17WarpLoadAlgorithmE2EdEvPT3_S3_
	.globl	_Z16warp_load_kernelILj256ELj64ELj32ELN6hipcub17WarpLoadAlgorithmE2EdEvPT3_S3_
	.p2align	8
	.type	_Z16warp_load_kernelILj256ELj64ELj32ELN6hipcub17WarpLoadAlgorithmE2EdEvPT3_S3_,@function
_Z16warp_load_kernelILj256ELj64ELj32ELN6hipcub17WarpLoadAlgorithmE2EdEvPT3_S3_: ; @_Z16warp_load_kernelILj256ELj64ELj32ELN6hipcub17WarpLoadAlgorithmE2EdEvPT3_S3_
; %bb.0:
	s_load_b128 s[0:3], s[0:1], 0x0
	v_dual_mov_b32 v130, 0 :: v_dual_lshlrev_b32 v1, 6, v0
	s_lshl_b32 s4, ttmp9, 14
	v_mbcnt_lo_u32_b32 v3, -1, 0
	s_delay_alu instid0(VALU_DEP_2) | instskip(NEXT) | instid1(VALU_DEP_3)
	v_and_or_b32 v129, 0x3800, v1, s4
	v_mov_b32_e32 v132, v130
	s_delay_alu instid0(VALU_DEP_3) | instskip(NEXT) | instid1(VALU_DEP_3)
	v_dual_mov_b32 v134, v130 :: v_dual_lshlrev_b32 v3, 9, v3
	v_lshlrev_b64_e32 v[1:2], 3, v[129:130]
	v_or_b32_e32 v129, s4, v0
	s_delay_alu instid0(VALU_DEP_1) | instskip(SKIP_4) | instid1(VALU_DEP_1)
	v_or_b32_e32 v131, 0x3d00, v129
	v_or_b32_e32 v133, 0x3e00, v129
	v_lshlrev_b64_e32 v[135:136], 3, v[129:130]
	s_wait_kmcnt 0x0
	v_add_co_u32 v1, vcc_lo, s0, v1
	v_add_co_ci_u32_e64 v2, null, s1, v2, vcc_lo
	v_or_b32_e32 v129, 0x3f00, v129
	s_delay_alu instid0(VALU_DEP_3) | instskip(SKIP_1) | instid1(VALU_DEP_3)
	v_add_co_u32 v125, vcc_lo, v1, v3
	s_wait_alu 0xfffd
	v_add_co_ci_u32_e64 v126, null, 0, v2, vcc_lo
	v_lshlrev_b64_e32 v[131:132], 3, v[131:132]
	v_lshlrev_b64_e32 v[133:134], 3, v[133:134]
	;; [unrolled: 1-line block ×3, first 2 shown]
	s_clause 0x1f
	global_load_b128 v[1:4], v[125:126], off
	global_load_b128 v[5:8], v[125:126], off offset:16
	global_load_b128 v[9:12], v[125:126], off offset:32
	;; [unrolled: 1-line block ×31, first 2 shown]
	v_add_co_u32 v135, vcc_lo, s2, v135
	s_wait_alu 0xfffd
	v_add_co_ci_u32_e64 v136, null, s3, v136, vcc_lo
	v_add_co_u32 v131, vcc_lo, s2, v131
	s_wait_alu 0xfffd
	v_add_co_ci_u32_e64 v132, null, s3, v132, vcc_lo
	;; [unrolled: 3-line block ×4, first 2 shown]
	s_wait_loadcnt 0x1f
	s_clause 0x1
	global_store_b64 v[135:136], v[1:2], off
	global_store_b64 v[135:136], v[3:4], off offset:2048
	s_wait_loadcnt 0x1e
	s_clause 0x1
	global_store_b64 v[135:136], v[5:6], off offset:4096
	global_store_b64 v[135:136], v[7:8], off offset:6144
	s_wait_loadcnt 0x1d
	s_clause 0x1
	global_store_b64 v[135:136], v[9:10], off offset:8192
	global_store_b64 v[135:136], v[11:12], off offset:10240
	s_wait_loadcnt 0x1c
	s_clause 0x1
	global_store_b64 v[135:136], v[13:14], off offset:12288
	global_store_b64 v[135:136], v[15:16], off offset:14336
	s_wait_loadcnt 0x1b
	s_clause 0x1
	global_store_b64 v[135:136], v[17:18], off offset:16384
	global_store_b64 v[135:136], v[19:20], off offset:18432
	s_wait_loadcnt 0x1a
	s_clause 0x1
	global_store_b64 v[135:136], v[21:22], off offset:20480
	global_store_b64 v[135:136], v[23:24], off offset:22528
	s_wait_loadcnt 0x19
	s_clause 0x1
	global_store_b64 v[135:136], v[25:26], off offset:24576
	global_store_b64 v[135:136], v[27:28], off offset:26624
	s_wait_loadcnt 0x18
	s_clause 0x1
	global_store_b64 v[135:136], v[29:30], off offset:28672
	global_store_b64 v[135:136], v[31:32], off offset:30720
	s_wait_loadcnt 0x17
	s_clause 0x1
	global_store_b64 v[135:136], v[33:34], off offset:32768
	global_store_b64 v[135:136], v[35:36], off offset:34816
	s_wait_loadcnt 0x16
	s_clause 0x1
	global_store_b64 v[135:136], v[37:38], off offset:36864
	global_store_b64 v[135:136], v[39:40], off offset:38912
	s_wait_loadcnt 0x15
	s_clause 0x1
	global_store_b64 v[135:136], v[41:42], off offset:40960
	global_store_b64 v[135:136], v[43:44], off offset:43008
	s_wait_loadcnt 0x14
	s_clause 0x1
	global_store_b64 v[135:136], v[45:46], off offset:45056
	global_store_b64 v[135:136], v[47:48], off offset:47104
	s_wait_loadcnt 0x13
	s_clause 0x1
	global_store_b64 v[135:136], v[49:50], off offset:49152
	global_store_b64 v[135:136], v[51:52], off offset:51200
	s_wait_loadcnt 0x12
	s_clause 0x1
	global_store_b64 v[135:136], v[53:54], off offset:53248
	global_store_b64 v[135:136], v[55:56], off offset:55296
	s_wait_loadcnt 0x11
	s_clause 0x1
	global_store_b64 v[135:136], v[57:58], off offset:57344
	global_store_b64 v[135:136], v[59:60], off offset:59392
	s_wait_loadcnt 0x10
	s_clause 0x1
	global_store_b64 v[135:136], v[61:62], off offset:61440
	global_store_b64 v[135:136], v[63:64], off offset:63488
	s_wait_loadcnt 0xf
	s_clause 0x1
	global_store_b64 v[135:136], v[65:66], off offset:65536
	global_store_b64 v[135:136], v[67:68], off offset:67584
	s_wait_loadcnt 0xe
	s_clause 0x1
	global_store_b64 v[135:136], v[69:70], off offset:69632
	global_store_b64 v[135:136], v[71:72], off offset:71680
	s_wait_loadcnt 0xd
	s_clause 0x1
	global_store_b64 v[135:136], v[73:74], off offset:73728
	global_store_b64 v[135:136], v[75:76], off offset:75776
	s_wait_loadcnt 0xc
	s_clause 0x1
	global_store_b64 v[135:136], v[77:78], off offset:77824
	global_store_b64 v[135:136], v[79:80], off offset:79872
	s_wait_loadcnt 0xb
	s_clause 0x1
	global_store_b64 v[135:136], v[81:82], off offset:81920
	global_store_b64 v[135:136], v[83:84], off offset:83968
	s_wait_loadcnt 0xa
	s_clause 0x1
	global_store_b64 v[135:136], v[85:86], off offset:86016
	global_store_b64 v[135:136], v[87:88], off offset:88064
	s_wait_loadcnt 0x9
	s_clause 0x1
	global_store_b64 v[135:136], v[89:90], off offset:90112
	global_store_b64 v[135:136], v[91:92], off offset:92160
	s_wait_loadcnt 0x8
	s_clause 0x1
	global_store_b64 v[135:136], v[93:94], off offset:94208
	global_store_b64 v[135:136], v[95:96], off offset:96256
	s_wait_loadcnt 0x7
	s_clause 0x1
	global_store_b64 v[135:136], v[97:98], off offset:98304
	global_store_b64 v[135:136], v[99:100], off offset:100352
	s_wait_loadcnt 0x6
	s_clause 0x1
	global_store_b64 v[135:136], v[101:102], off offset:102400
	global_store_b64 v[135:136], v[103:104], off offset:104448
	s_wait_loadcnt 0x5
	s_clause 0x1
	global_store_b64 v[135:136], v[105:106], off offset:106496
	global_store_b64 v[135:136], v[107:108], off offset:108544
	s_wait_loadcnt 0x4
	s_clause 0x1
	global_store_b64 v[135:136], v[109:110], off offset:110592
	global_store_b64 v[135:136], v[111:112], off offset:112640
	s_wait_loadcnt 0x3
	s_clause 0x1
	global_store_b64 v[135:136], v[113:114], off offset:114688
	global_store_b64 v[135:136], v[115:116], off offset:116736
	s_wait_loadcnt 0x2
	s_clause 0x1
	global_store_b64 v[135:136], v[117:118], off offset:118784
	global_store_b64 v[135:136], v[119:120], off offset:120832
	s_wait_loadcnt 0x1
	s_clause 0x1
	global_store_b64 v[135:136], v[121:122], off offset:122880
	global_store_b64 v[131:132], v[123:124], off
	s_wait_loadcnt 0x0
	s_clause 0x1
	global_store_b64 v[133:134], v[125:126], off
	global_store_b64 v[129:130], v[127:128], off
	s_nop 0
	s_sendmsg sendmsg(MSG_DEALLOC_VGPRS)
	s_endpgm
	.section	.rodata,"a",@progbits
	.p2align	6, 0x0
	.amdhsa_kernel _Z16warp_load_kernelILj256ELj64ELj32ELN6hipcub17WarpLoadAlgorithmE2EdEvPT3_S3_
		.amdhsa_group_segment_fixed_size 0
		.amdhsa_private_segment_fixed_size 0
		.amdhsa_kernarg_size 16
		.amdhsa_user_sgpr_count 2
		.amdhsa_user_sgpr_dispatch_ptr 0
		.amdhsa_user_sgpr_queue_ptr 0
		.amdhsa_user_sgpr_kernarg_segment_ptr 1
		.amdhsa_user_sgpr_dispatch_id 0
		.amdhsa_user_sgpr_private_segment_size 0
		.amdhsa_wavefront_size32 1
		.amdhsa_uses_dynamic_stack 0
		.amdhsa_enable_private_segment 0
		.amdhsa_system_sgpr_workgroup_id_x 1
		.amdhsa_system_sgpr_workgroup_id_y 0
		.amdhsa_system_sgpr_workgroup_id_z 0
		.amdhsa_system_sgpr_workgroup_info 0
		.amdhsa_system_vgpr_workitem_id 0
		.amdhsa_next_free_vgpr 137
		.amdhsa_next_free_sgpr 5
		.amdhsa_reserve_vcc 1
		.amdhsa_float_round_mode_32 0
		.amdhsa_float_round_mode_16_64 0
		.amdhsa_float_denorm_mode_32 3
		.amdhsa_float_denorm_mode_16_64 3
		.amdhsa_fp16_overflow 0
		.amdhsa_workgroup_processor_mode 1
		.amdhsa_memory_ordered 1
		.amdhsa_forward_progress 1
		.amdhsa_inst_pref_size 13
		.amdhsa_round_robin_scheduling 0
		.amdhsa_exception_fp_ieee_invalid_op 0
		.amdhsa_exception_fp_denorm_src 0
		.amdhsa_exception_fp_ieee_div_zero 0
		.amdhsa_exception_fp_ieee_overflow 0
		.amdhsa_exception_fp_ieee_underflow 0
		.amdhsa_exception_fp_ieee_inexact 0
		.amdhsa_exception_int_div_zero 0
	.end_amdhsa_kernel
	.section	.text._Z16warp_load_kernelILj256ELj64ELj32ELN6hipcub17WarpLoadAlgorithmE2EdEvPT3_S3_,"axG",@progbits,_Z16warp_load_kernelILj256ELj64ELj32ELN6hipcub17WarpLoadAlgorithmE2EdEvPT3_S3_,comdat
.Lfunc_end36:
	.size	_Z16warp_load_kernelILj256ELj64ELj32ELN6hipcub17WarpLoadAlgorithmE2EdEvPT3_S3_, .Lfunc_end36-_Z16warp_load_kernelILj256ELj64ELj32ELN6hipcub17WarpLoadAlgorithmE2EdEvPT3_S3_
                                        ; -- End function
	.set _Z16warp_load_kernelILj256ELj64ELj32ELN6hipcub17WarpLoadAlgorithmE2EdEvPT3_S3_.num_vgpr, 137
	.set _Z16warp_load_kernelILj256ELj64ELj32ELN6hipcub17WarpLoadAlgorithmE2EdEvPT3_S3_.num_agpr, 0
	.set _Z16warp_load_kernelILj256ELj64ELj32ELN6hipcub17WarpLoadAlgorithmE2EdEvPT3_S3_.numbered_sgpr, 5
	.set _Z16warp_load_kernelILj256ELj64ELj32ELN6hipcub17WarpLoadAlgorithmE2EdEvPT3_S3_.num_named_barrier, 0
	.set _Z16warp_load_kernelILj256ELj64ELj32ELN6hipcub17WarpLoadAlgorithmE2EdEvPT3_S3_.private_seg_size, 0
	.set _Z16warp_load_kernelILj256ELj64ELj32ELN6hipcub17WarpLoadAlgorithmE2EdEvPT3_S3_.uses_vcc, 1
	.set _Z16warp_load_kernelILj256ELj64ELj32ELN6hipcub17WarpLoadAlgorithmE2EdEvPT3_S3_.uses_flat_scratch, 0
	.set _Z16warp_load_kernelILj256ELj64ELj32ELN6hipcub17WarpLoadAlgorithmE2EdEvPT3_S3_.has_dyn_sized_stack, 0
	.set _Z16warp_load_kernelILj256ELj64ELj32ELN6hipcub17WarpLoadAlgorithmE2EdEvPT3_S3_.has_recursion, 0
	.set _Z16warp_load_kernelILj256ELj64ELj32ELN6hipcub17WarpLoadAlgorithmE2EdEvPT3_S3_.has_indirect_call, 0
	.section	.AMDGPU.csdata,"",@progbits
; Kernel info:
; codeLenInByte = 1660
; TotalNumSgprs: 7
; NumVgprs: 137
; ScratchSize: 0
; MemoryBound: 1
; FloatMode: 240
; IeeeMode: 1
; LDSByteSize: 0 bytes/workgroup (compile time only)
; SGPRBlocks: 0
; VGPRBlocks: 17
; NumSGPRsForWavesPerEU: 7
; NumVGPRsForWavesPerEU: 137
; Occupancy: 10
; WaveLimiterHint : 1
; COMPUTE_PGM_RSRC2:SCRATCH_EN: 0
; COMPUTE_PGM_RSRC2:USER_SGPR: 2
; COMPUTE_PGM_RSRC2:TRAP_HANDLER: 0
; COMPUTE_PGM_RSRC2:TGID_X_EN: 1
; COMPUTE_PGM_RSRC2:TGID_Y_EN: 0
; COMPUTE_PGM_RSRC2:TGID_Z_EN: 0
; COMPUTE_PGM_RSRC2:TIDIG_COMP_CNT: 0
	.section	.text._Z16warp_load_kernelILj256ELj4ELj64ELN6hipcub17WarpLoadAlgorithmE0EiEvPT3_S3_,"axG",@progbits,_Z16warp_load_kernelILj256ELj4ELj64ELN6hipcub17WarpLoadAlgorithmE0EiEvPT3_S3_,comdat
	.protected	_Z16warp_load_kernelILj256ELj4ELj64ELN6hipcub17WarpLoadAlgorithmE0EiEvPT3_S3_ ; -- Begin function _Z16warp_load_kernelILj256ELj4ELj64ELN6hipcub17WarpLoadAlgorithmE0EiEvPT3_S3_
	.globl	_Z16warp_load_kernelILj256ELj4ELj64ELN6hipcub17WarpLoadAlgorithmE0EiEvPT3_S3_
	.p2align	8
	.type	_Z16warp_load_kernelILj256ELj4ELj64ELN6hipcub17WarpLoadAlgorithmE0EiEvPT3_S3_,@function
_Z16warp_load_kernelILj256ELj4ELj64ELN6hipcub17WarpLoadAlgorithmE0EiEvPT3_S3_: ; @_Z16warp_load_kernelILj256ELj4ELj64ELN6hipcub17WarpLoadAlgorithmE0EiEvPT3_S3_
; %bb.0:
	s_load_b128 s[0:3], s[0:1], 0x0
	v_dual_mov_b32 v6, 0 :: v_dual_lshlrev_b32 v1, 2, v0
	s_lshl_b32 s4, ttmp9, 10
	v_mbcnt_lo_u32_b32 v3, -1, 0
	s_delay_alu instid0(VALU_DEP_2) | instskip(NEXT) | instid1(VALU_DEP_3)
	v_and_or_b32 v5, 0x300, v1, s4
	v_mov_b32_e32 v8, v6
	s_delay_alu instid0(VALU_DEP_3) | instskip(NEXT) | instid1(VALU_DEP_3)
	v_dual_mov_b32 v10, v6 :: v_dual_lshlrev_b32 v3, 4, v3
	v_lshlrev_b64_e32 v[1:2], 2, v[5:6]
	v_or_b32_e32 v5, s4, v0
	s_delay_alu instid0(VALU_DEP_1) | instskip(SKIP_4) | instid1(VALU_DEP_1)
	v_or_b32_e32 v7, 0x100, v5
	v_or_b32_e32 v9, 0x200, v5
	v_lshlrev_b64_e32 v[11:12], 2, v[5:6]
	s_wait_kmcnt 0x0
	v_add_co_u32 v1, vcc_lo, s0, v1
	v_add_co_ci_u32_e64 v2, null, s1, v2, vcc_lo
	v_or_b32_e32 v5, 0x300, v5
	s_delay_alu instid0(VALU_DEP_3) | instskip(SKIP_1) | instid1(VALU_DEP_3)
	v_add_co_u32 v1, vcc_lo, v1, v3
	s_wait_alu 0xfffd
	v_add_co_ci_u32_e64 v2, null, 0, v2, vcc_lo
	v_lshlrev_b64_e32 v[7:8], 2, v[7:8]
	v_lshlrev_b64_e32 v[9:10], 2, v[9:10]
	;; [unrolled: 1-line block ×3, first 2 shown]
	global_load_b128 v[1:4], v[1:2], off
	v_add_co_u32 v11, vcc_lo, s2, v11
	s_wait_alu 0xfffd
	v_add_co_ci_u32_e64 v12, null, s3, v12, vcc_lo
	v_add_co_u32 v7, vcc_lo, s2, v7
	s_wait_alu 0xfffd
	v_add_co_ci_u32_e64 v8, null, s3, v8, vcc_lo
	;; [unrolled: 3-line block ×4, first 2 shown]
	s_wait_loadcnt 0x0
	s_clause 0x3
	global_store_b32 v[11:12], v1, off
	global_store_b32 v[7:8], v2, off
	;; [unrolled: 1-line block ×4, first 2 shown]
	s_endpgm
	.section	.rodata,"a",@progbits
	.p2align	6, 0x0
	.amdhsa_kernel _Z16warp_load_kernelILj256ELj4ELj64ELN6hipcub17WarpLoadAlgorithmE0EiEvPT3_S3_
		.amdhsa_group_segment_fixed_size 0
		.amdhsa_private_segment_fixed_size 0
		.amdhsa_kernarg_size 16
		.amdhsa_user_sgpr_count 2
		.amdhsa_user_sgpr_dispatch_ptr 0
		.amdhsa_user_sgpr_queue_ptr 0
		.amdhsa_user_sgpr_kernarg_segment_ptr 1
		.amdhsa_user_sgpr_dispatch_id 0
		.amdhsa_user_sgpr_private_segment_size 0
		.amdhsa_wavefront_size32 1
		.amdhsa_uses_dynamic_stack 0
		.amdhsa_enable_private_segment 0
		.amdhsa_system_sgpr_workgroup_id_x 1
		.amdhsa_system_sgpr_workgroup_id_y 0
		.amdhsa_system_sgpr_workgroup_id_z 0
		.amdhsa_system_sgpr_workgroup_info 0
		.amdhsa_system_vgpr_workitem_id 0
		.amdhsa_next_free_vgpr 13
		.amdhsa_next_free_sgpr 5
		.amdhsa_reserve_vcc 1
		.amdhsa_float_round_mode_32 0
		.amdhsa_float_round_mode_16_64 0
		.amdhsa_float_denorm_mode_32 3
		.amdhsa_float_denorm_mode_16_64 3
		.amdhsa_fp16_overflow 0
		.amdhsa_workgroup_processor_mode 1
		.amdhsa_memory_ordered 1
		.amdhsa_forward_progress 1
		.amdhsa_inst_pref_size 3
		.amdhsa_round_robin_scheduling 0
		.amdhsa_exception_fp_ieee_invalid_op 0
		.amdhsa_exception_fp_denorm_src 0
		.amdhsa_exception_fp_ieee_div_zero 0
		.amdhsa_exception_fp_ieee_overflow 0
		.amdhsa_exception_fp_ieee_underflow 0
		.amdhsa_exception_fp_ieee_inexact 0
		.amdhsa_exception_int_div_zero 0
	.end_amdhsa_kernel
	.section	.text._Z16warp_load_kernelILj256ELj4ELj64ELN6hipcub17WarpLoadAlgorithmE0EiEvPT3_S3_,"axG",@progbits,_Z16warp_load_kernelILj256ELj4ELj64ELN6hipcub17WarpLoadAlgorithmE0EiEvPT3_S3_,comdat
.Lfunc_end37:
	.size	_Z16warp_load_kernelILj256ELj4ELj64ELN6hipcub17WarpLoadAlgorithmE0EiEvPT3_S3_, .Lfunc_end37-_Z16warp_load_kernelILj256ELj4ELj64ELN6hipcub17WarpLoadAlgorithmE0EiEvPT3_S3_
                                        ; -- End function
	.set _Z16warp_load_kernelILj256ELj4ELj64ELN6hipcub17WarpLoadAlgorithmE0EiEvPT3_S3_.num_vgpr, 13
	.set _Z16warp_load_kernelILj256ELj4ELj64ELN6hipcub17WarpLoadAlgorithmE0EiEvPT3_S3_.num_agpr, 0
	.set _Z16warp_load_kernelILj256ELj4ELj64ELN6hipcub17WarpLoadAlgorithmE0EiEvPT3_S3_.numbered_sgpr, 5
	.set _Z16warp_load_kernelILj256ELj4ELj64ELN6hipcub17WarpLoadAlgorithmE0EiEvPT3_S3_.num_named_barrier, 0
	.set _Z16warp_load_kernelILj256ELj4ELj64ELN6hipcub17WarpLoadAlgorithmE0EiEvPT3_S3_.private_seg_size, 0
	.set _Z16warp_load_kernelILj256ELj4ELj64ELN6hipcub17WarpLoadAlgorithmE0EiEvPT3_S3_.uses_vcc, 1
	.set _Z16warp_load_kernelILj256ELj4ELj64ELN6hipcub17WarpLoadAlgorithmE0EiEvPT3_S3_.uses_flat_scratch, 0
	.set _Z16warp_load_kernelILj256ELj4ELj64ELN6hipcub17WarpLoadAlgorithmE0EiEvPT3_S3_.has_dyn_sized_stack, 0
	.set _Z16warp_load_kernelILj256ELj4ELj64ELN6hipcub17WarpLoadAlgorithmE0EiEvPT3_S3_.has_recursion, 0
	.set _Z16warp_load_kernelILj256ELj4ELj64ELN6hipcub17WarpLoadAlgorithmE0EiEvPT3_S3_.has_indirect_call, 0
	.section	.AMDGPU.csdata,"",@progbits
; Kernel info:
; codeLenInByte = 308
; TotalNumSgprs: 7
; NumVgprs: 13
; ScratchSize: 0
; MemoryBound: 0
; FloatMode: 240
; IeeeMode: 1
; LDSByteSize: 0 bytes/workgroup (compile time only)
; SGPRBlocks: 0
; VGPRBlocks: 1
; NumSGPRsForWavesPerEU: 7
; NumVGPRsForWavesPerEU: 13
; Occupancy: 16
; WaveLimiterHint : 0
; COMPUTE_PGM_RSRC2:SCRATCH_EN: 0
; COMPUTE_PGM_RSRC2:USER_SGPR: 2
; COMPUTE_PGM_RSRC2:TRAP_HANDLER: 0
; COMPUTE_PGM_RSRC2:TGID_X_EN: 1
; COMPUTE_PGM_RSRC2:TGID_Y_EN: 0
; COMPUTE_PGM_RSRC2:TGID_Z_EN: 0
; COMPUTE_PGM_RSRC2:TIDIG_COMP_CNT: 0
	.section	.text._Z16warp_load_kernelILj256ELj4ELj64ELN6hipcub17WarpLoadAlgorithmE1EiEvPT3_S3_,"axG",@progbits,_Z16warp_load_kernelILj256ELj4ELj64ELN6hipcub17WarpLoadAlgorithmE1EiEvPT3_S3_,comdat
	.protected	_Z16warp_load_kernelILj256ELj4ELj64ELN6hipcub17WarpLoadAlgorithmE1EiEvPT3_S3_ ; -- Begin function _Z16warp_load_kernelILj256ELj4ELj64ELN6hipcub17WarpLoadAlgorithmE1EiEvPT3_S3_
	.globl	_Z16warp_load_kernelILj256ELj4ELj64ELN6hipcub17WarpLoadAlgorithmE1EiEvPT3_S3_
	.p2align	8
	.type	_Z16warp_load_kernelILj256ELj4ELj64ELN6hipcub17WarpLoadAlgorithmE1EiEvPT3_S3_,@function
_Z16warp_load_kernelILj256ELj4ELj64ELN6hipcub17WarpLoadAlgorithmE1EiEvPT3_S3_: ; @_Z16warp_load_kernelILj256ELj4ELj64ELN6hipcub17WarpLoadAlgorithmE1EiEvPT3_S3_
; %bb.0:
	s_load_b128 s[0:3], s[0:1], 0x0
	v_dual_mov_b32 v2, 0 :: v_dual_lshlrev_b32 v1, 2, v0
	s_lshl_b32 s4, ttmp9, 10
	v_mbcnt_lo_u32_b32 v5, -1, 0
	s_delay_alu instid0(VALU_DEP_2) | instskip(NEXT) | instid1(VALU_DEP_3)
	v_and_or_b32 v1, 0x300, v1, s4
	v_mov_b32_e32 v6, v2
	s_delay_alu instid0(VALU_DEP_2) | instskip(NEXT) | instid1(VALU_DEP_4)
	v_lshlrev_b64_e32 v[3:4], 2, v[1:2]
	v_lshlrev_b32_e32 v1, 2, v5
	s_wait_kmcnt 0x0
	s_delay_alu instid0(VALU_DEP_2) | instskip(NEXT) | instid1(VALU_DEP_1)
	v_add_co_u32 v3, vcc_lo, s0, v3
	v_add_co_ci_u32_e64 v4, null, s1, v4, vcc_lo
	s_delay_alu instid0(VALU_DEP_2) | instskip(SKIP_1) | instid1(VALU_DEP_2)
	v_add_co_u32 v3, vcc_lo, v3, v1
	s_wait_alu 0xfffd
	v_add_co_ci_u32_e64 v4, null, 0, v4, vcc_lo
	v_or_b32_e32 v1, s4, v0
	s_clause 0x3
	global_load_b32 v9, v[3:4], off
	global_load_b32 v10, v[3:4], off offset:256
	global_load_b32 v11, v[3:4], off offset:512
	;; [unrolled: 1-line block ×3, first 2 shown]
	v_mov_b32_e32 v4, v2
	v_or_b32_e32 v3, 0x100, v1
	v_or_b32_e32 v5, 0x200, v1
	v_lshlrev_b64_e32 v[7:8], 2, v[1:2]
	v_or_b32_e32 v1, 0x300, v1
	s_delay_alu instid0(VALU_DEP_4) | instskip(NEXT) | instid1(VALU_DEP_4)
	v_lshlrev_b64_e32 v[3:4], 2, v[3:4]
	v_lshlrev_b64_e32 v[5:6], 2, v[5:6]
	s_delay_alu instid0(VALU_DEP_3)
	v_lshlrev_b64_e32 v[0:1], 2, v[1:2]
	v_add_co_u32 v7, vcc_lo, s2, v7
	s_wait_alu 0xfffd
	v_add_co_ci_u32_e64 v8, null, s3, v8, vcc_lo
	v_add_co_u32 v2, vcc_lo, s2, v3
	s_wait_alu 0xfffd
	v_add_co_ci_u32_e64 v3, null, s3, v4, vcc_lo
	;; [unrolled: 3-line block ×4, first 2 shown]
	s_wait_loadcnt 0x3
	global_store_b32 v[7:8], v9, off
	s_wait_loadcnt 0x2
	global_store_b32 v[2:3], v10, off
	s_wait_loadcnt 0x1
	global_store_b32 v[4:5], v11, off
	s_wait_loadcnt 0x0
	global_store_b32 v[0:1], v12, off
	s_endpgm
	.section	.rodata,"a",@progbits
	.p2align	6, 0x0
	.amdhsa_kernel _Z16warp_load_kernelILj256ELj4ELj64ELN6hipcub17WarpLoadAlgorithmE1EiEvPT3_S3_
		.amdhsa_group_segment_fixed_size 0
		.amdhsa_private_segment_fixed_size 0
		.amdhsa_kernarg_size 16
		.amdhsa_user_sgpr_count 2
		.amdhsa_user_sgpr_dispatch_ptr 0
		.amdhsa_user_sgpr_queue_ptr 0
		.amdhsa_user_sgpr_kernarg_segment_ptr 1
		.amdhsa_user_sgpr_dispatch_id 0
		.amdhsa_user_sgpr_private_segment_size 0
		.amdhsa_wavefront_size32 1
		.amdhsa_uses_dynamic_stack 0
		.amdhsa_enable_private_segment 0
		.amdhsa_system_sgpr_workgroup_id_x 1
		.amdhsa_system_sgpr_workgroup_id_y 0
		.amdhsa_system_sgpr_workgroup_id_z 0
		.amdhsa_system_sgpr_workgroup_info 0
		.amdhsa_system_vgpr_workitem_id 0
		.amdhsa_next_free_vgpr 13
		.amdhsa_next_free_sgpr 5
		.amdhsa_reserve_vcc 1
		.amdhsa_float_round_mode_32 0
		.amdhsa_float_round_mode_16_64 0
		.amdhsa_float_denorm_mode_32 3
		.amdhsa_float_denorm_mode_16_64 3
		.amdhsa_fp16_overflow 0
		.amdhsa_workgroup_processor_mode 1
		.amdhsa_memory_ordered 1
		.amdhsa_forward_progress 1
		.amdhsa_inst_pref_size 3
		.amdhsa_round_robin_scheduling 0
		.amdhsa_exception_fp_ieee_invalid_op 0
		.amdhsa_exception_fp_denorm_src 0
		.amdhsa_exception_fp_ieee_div_zero 0
		.amdhsa_exception_fp_ieee_overflow 0
		.amdhsa_exception_fp_ieee_underflow 0
		.amdhsa_exception_fp_ieee_inexact 0
		.amdhsa_exception_int_div_zero 0
	.end_amdhsa_kernel
	.section	.text._Z16warp_load_kernelILj256ELj4ELj64ELN6hipcub17WarpLoadAlgorithmE1EiEvPT3_S3_,"axG",@progbits,_Z16warp_load_kernelILj256ELj4ELj64ELN6hipcub17WarpLoadAlgorithmE1EiEvPT3_S3_,comdat
.Lfunc_end38:
	.size	_Z16warp_load_kernelILj256ELj4ELj64ELN6hipcub17WarpLoadAlgorithmE1EiEvPT3_S3_, .Lfunc_end38-_Z16warp_load_kernelILj256ELj4ELj64ELN6hipcub17WarpLoadAlgorithmE1EiEvPT3_S3_
                                        ; -- End function
	.set _Z16warp_load_kernelILj256ELj4ELj64ELN6hipcub17WarpLoadAlgorithmE1EiEvPT3_S3_.num_vgpr, 13
	.set _Z16warp_load_kernelILj256ELj4ELj64ELN6hipcub17WarpLoadAlgorithmE1EiEvPT3_S3_.num_agpr, 0
	.set _Z16warp_load_kernelILj256ELj4ELj64ELN6hipcub17WarpLoadAlgorithmE1EiEvPT3_S3_.numbered_sgpr, 5
	.set _Z16warp_load_kernelILj256ELj4ELj64ELN6hipcub17WarpLoadAlgorithmE1EiEvPT3_S3_.num_named_barrier, 0
	.set _Z16warp_load_kernelILj256ELj4ELj64ELN6hipcub17WarpLoadAlgorithmE1EiEvPT3_S3_.private_seg_size, 0
	.set _Z16warp_load_kernelILj256ELj4ELj64ELN6hipcub17WarpLoadAlgorithmE1EiEvPT3_S3_.uses_vcc, 1
	.set _Z16warp_load_kernelILj256ELj4ELj64ELN6hipcub17WarpLoadAlgorithmE1EiEvPT3_S3_.uses_flat_scratch, 0
	.set _Z16warp_load_kernelILj256ELj4ELj64ELN6hipcub17WarpLoadAlgorithmE1EiEvPT3_S3_.has_dyn_sized_stack, 0
	.set _Z16warp_load_kernelILj256ELj4ELj64ELN6hipcub17WarpLoadAlgorithmE1EiEvPT3_S3_.has_recursion, 0
	.set _Z16warp_load_kernelILj256ELj4ELj64ELN6hipcub17WarpLoadAlgorithmE1EiEvPT3_S3_.has_indirect_call, 0
	.section	.AMDGPU.csdata,"",@progbits
; Kernel info:
; codeLenInByte = 364
; TotalNumSgprs: 7
; NumVgprs: 13
; ScratchSize: 0
; MemoryBound: 0
; FloatMode: 240
; IeeeMode: 1
; LDSByteSize: 0 bytes/workgroup (compile time only)
; SGPRBlocks: 0
; VGPRBlocks: 1
; NumSGPRsForWavesPerEU: 7
; NumVGPRsForWavesPerEU: 13
; Occupancy: 16
; WaveLimiterHint : 1
; COMPUTE_PGM_RSRC2:SCRATCH_EN: 0
; COMPUTE_PGM_RSRC2:USER_SGPR: 2
; COMPUTE_PGM_RSRC2:TRAP_HANDLER: 0
; COMPUTE_PGM_RSRC2:TGID_X_EN: 1
; COMPUTE_PGM_RSRC2:TGID_Y_EN: 0
; COMPUTE_PGM_RSRC2:TGID_Z_EN: 0
; COMPUTE_PGM_RSRC2:TIDIG_COMP_CNT: 0
	.section	.text._Z16warp_load_kernelILj256ELj4ELj64ELN6hipcub17WarpLoadAlgorithmE2EiEvPT3_S3_,"axG",@progbits,_Z16warp_load_kernelILj256ELj4ELj64ELN6hipcub17WarpLoadAlgorithmE2EiEvPT3_S3_,comdat
	.protected	_Z16warp_load_kernelILj256ELj4ELj64ELN6hipcub17WarpLoadAlgorithmE2EiEvPT3_S3_ ; -- Begin function _Z16warp_load_kernelILj256ELj4ELj64ELN6hipcub17WarpLoadAlgorithmE2EiEvPT3_S3_
	.globl	_Z16warp_load_kernelILj256ELj4ELj64ELN6hipcub17WarpLoadAlgorithmE2EiEvPT3_S3_
	.p2align	8
	.type	_Z16warp_load_kernelILj256ELj4ELj64ELN6hipcub17WarpLoadAlgorithmE2EiEvPT3_S3_,@function
_Z16warp_load_kernelILj256ELj4ELj64ELN6hipcub17WarpLoadAlgorithmE2EiEvPT3_S3_: ; @_Z16warp_load_kernelILj256ELj4ELj64ELN6hipcub17WarpLoadAlgorithmE2EiEvPT3_S3_
; %bb.0:
	s_load_b128 s[0:3], s[0:1], 0x0
	v_dual_mov_b32 v6, 0 :: v_dual_lshlrev_b32 v1, 2, v0
	s_lshl_b32 s4, ttmp9, 10
	v_mbcnt_lo_u32_b32 v3, -1, 0
	s_delay_alu instid0(VALU_DEP_2) | instskip(NEXT) | instid1(VALU_DEP_3)
	v_and_or_b32 v5, 0x300, v1, s4
	v_mov_b32_e32 v8, v6
	s_delay_alu instid0(VALU_DEP_3) | instskip(NEXT) | instid1(VALU_DEP_3)
	v_dual_mov_b32 v10, v6 :: v_dual_lshlrev_b32 v3, 4, v3
	v_lshlrev_b64_e32 v[1:2], 2, v[5:6]
	v_or_b32_e32 v5, s4, v0
	s_delay_alu instid0(VALU_DEP_1) | instskip(SKIP_4) | instid1(VALU_DEP_1)
	v_or_b32_e32 v7, 0x100, v5
	v_or_b32_e32 v9, 0x200, v5
	v_lshlrev_b64_e32 v[11:12], 2, v[5:6]
	s_wait_kmcnt 0x0
	v_add_co_u32 v1, vcc_lo, s0, v1
	v_add_co_ci_u32_e64 v2, null, s1, v2, vcc_lo
	v_or_b32_e32 v5, 0x300, v5
	s_delay_alu instid0(VALU_DEP_3) | instskip(SKIP_1) | instid1(VALU_DEP_3)
	v_add_co_u32 v1, vcc_lo, v1, v3
	s_wait_alu 0xfffd
	v_add_co_ci_u32_e64 v2, null, 0, v2, vcc_lo
	v_lshlrev_b64_e32 v[7:8], 2, v[7:8]
	v_lshlrev_b64_e32 v[9:10], 2, v[9:10]
	v_lshlrev_b64_e32 v[5:6], 2, v[5:6]
	global_load_b128 v[1:4], v[1:2], off
	v_add_co_u32 v11, vcc_lo, s2, v11
	s_wait_alu 0xfffd
	v_add_co_ci_u32_e64 v12, null, s3, v12, vcc_lo
	v_add_co_u32 v7, vcc_lo, s2, v7
	s_wait_alu 0xfffd
	v_add_co_ci_u32_e64 v8, null, s3, v8, vcc_lo
	;; [unrolled: 3-line block ×4, first 2 shown]
	s_wait_loadcnt 0x0
	s_clause 0x3
	global_store_b32 v[11:12], v1, off
	global_store_b32 v[7:8], v2, off
	;; [unrolled: 1-line block ×4, first 2 shown]
	s_endpgm
	.section	.rodata,"a",@progbits
	.p2align	6, 0x0
	.amdhsa_kernel _Z16warp_load_kernelILj256ELj4ELj64ELN6hipcub17WarpLoadAlgorithmE2EiEvPT3_S3_
		.amdhsa_group_segment_fixed_size 0
		.amdhsa_private_segment_fixed_size 0
		.amdhsa_kernarg_size 16
		.amdhsa_user_sgpr_count 2
		.amdhsa_user_sgpr_dispatch_ptr 0
		.amdhsa_user_sgpr_queue_ptr 0
		.amdhsa_user_sgpr_kernarg_segment_ptr 1
		.amdhsa_user_sgpr_dispatch_id 0
		.amdhsa_user_sgpr_private_segment_size 0
		.amdhsa_wavefront_size32 1
		.amdhsa_uses_dynamic_stack 0
		.amdhsa_enable_private_segment 0
		.amdhsa_system_sgpr_workgroup_id_x 1
		.amdhsa_system_sgpr_workgroup_id_y 0
		.amdhsa_system_sgpr_workgroup_id_z 0
		.amdhsa_system_sgpr_workgroup_info 0
		.amdhsa_system_vgpr_workitem_id 0
		.amdhsa_next_free_vgpr 13
		.amdhsa_next_free_sgpr 5
		.amdhsa_reserve_vcc 1
		.amdhsa_float_round_mode_32 0
		.amdhsa_float_round_mode_16_64 0
		.amdhsa_float_denorm_mode_32 3
		.amdhsa_float_denorm_mode_16_64 3
		.amdhsa_fp16_overflow 0
		.amdhsa_workgroup_processor_mode 1
		.amdhsa_memory_ordered 1
		.amdhsa_forward_progress 1
		.amdhsa_inst_pref_size 3
		.amdhsa_round_robin_scheduling 0
		.amdhsa_exception_fp_ieee_invalid_op 0
		.amdhsa_exception_fp_denorm_src 0
		.amdhsa_exception_fp_ieee_div_zero 0
		.amdhsa_exception_fp_ieee_overflow 0
		.amdhsa_exception_fp_ieee_underflow 0
		.amdhsa_exception_fp_ieee_inexact 0
		.amdhsa_exception_int_div_zero 0
	.end_amdhsa_kernel
	.section	.text._Z16warp_load_kernelILj256ELj4ELj64ELN6hipcub17WarpLoadAlgorithmE2EiEvPT3_S3_,"axG",@progbits,_Z16warp_load_kernelILj256ELj4ELj64ELN6hipcub17WarpLoadAlgorithmE2EiEvPT3_S3_,comdat
.Lfunc_end39:
	.size	_Z16warp_load_kernelILj256ELj4ELj64ELN6hipcub17WarpLoadAlgorithmE2EiEvPT3_S3_, .Lfunc_end39-_Z16warp_load_kernelILj256ELj4ELj64ELN6hipcub17WarpLoadAlgorithmE2EiEvPT3_S3_
                                        ; -- End function
	.set _Z16warp_load_kernelILj256ELj4ELj64ELN6hipcub17WarpLoadAlgorithmE2EiEvPT3_S3_.num_vgpr, 13
	.set _Z16warp_load_kernelILj256ELj4ELj64ELN6hipcub17WarpLoadAlgorithmE2EiEvPT3_S3_.num_agpr, 0
	.set _Z16warp_load_kernelILj256ELj4ELj64ELN6hipcub17WarpLoadAlgorithmE2EiEvPT3_S3_.numbered_sgpr, 5
	.set _Z16warp_load_kernelILj256ELj4ELj64ELN6hipcub17WarpLoadAlgorithmE2EiEvPT3_S3_.num_named_barrier, 0
	.set _Z16warp_load_kernelILj256ELj4ELj64ELN6hipcub17WarpLoadAlgorithmE2EiEvPT3_S3_.private_seg_size, 0
	.set _Z16warp_load_kernelILj256ELj4ELj64ELN6hipcub17WarpLoadAlgorithmE2EiEvPT3_S3_.uses_vcc, 1
	.set _Z16warp_load_kernelILj256ELj4ELj64ELN6hipcub17WarpLoadAlgorithmE2EiEvPT3_S3_.uses_flat_scratch, 0
	.set _Z16warp_load_kernelILj256ELj4ELj64ELN6hipcub17WarpLoadAlgorithmE2EiEvPT3_S3_.has_dyn_sized_stack, 0
	.set _Z16warp_load_kernelILj256ELj4ELj64ELN6hipcub17WarpLoadAlgorithmE2EiEvPT3_S3_.has_recursion, 0
	.set _Z16warp_load_kernelILj256ELj4ELj64ELN6hipcub17WarpLoadAlgorithmE2EiEvPT3_S3_.has_indirect_call, 0
	.section	.AMDGPU.csdata,"",@progbits
; Kernel info:
; codeLenInByte = 308
; TotalNumSgprs: 7
; NumVgprs: 13
; ScratchSize: 0
; MemoryBound: 0
; FloatMode: 240
; IeeeMode: 1
; LDSByteSize: 0 bytes/workgroup (compile time only)
; SGPRBlocks: 0
; VGPRBlocks: 1
; NumSGPRsForWavesPerEU: 7
; NumVGPRsForWavesPerEU: 13
; Occupancy: 16
; WaveLimiterHint : 0
; COMPUTE_PGM_RSRC2:SCRATCH_EN: 0
; COMPUTE_PGM_RSRC2:USER_SGPR: 2
; COMPUTE_PGM_RSRC2:TRAP_HANDLER: 0
; COMPUTE_PGM_RSRC2:TGID_X_EN: 1
; COMPUTE_PGM_RSRC2:TGID_Y_EN: 0
; COMPUTE_PGM_RSRC2:TGID_Z_EN: 0
; COMPUTE_PGM_RSRC2:TIDIG_COMP_CNT: 0
	.section	.text._Z16warp_load_kernelILj256ELj4ELj64ELN6hipcub17WarpLoadAlgorithmE3EiEvPT3_S3_,"axG",@progbits,_Z16warp_load_kernelILj256ELj4ELj64ELN6hipcub17WarpLoadAlgorithmE3EiEvPT3_S3_,comdat
	.protected	_Z16warp_load_kernelILj256ELj4ELj64ELN6hipcub17WarpLoadAlgorithmE3EiEvPT3_S3_ ; -- Begin function _Z16warp_load_kernelILj256ELj4ELj64ELN6hipcub17WarpLoadAlgorithmE3EiEvPT3_S3_
	.globl	_Z16warp_load_kernelILj256ELj4ELj64ELN6hipcub17WarpLoadAlgorithmE3EiEvPT3_S3_
	.p2align	8
	.type	_Z16warp_load_kernelILj256ELj4ELj64ELN6hipcub17WarpLoadAlgorithmE3EiEvPT3_S3_,@function
_Z16warp_load_kernelILj256ELj4ELj64ELN6hipcub17WarpLoadAlgorithmE3EiEvPT3_S3_: ; @_Z16warp_load_kernelILj256ELj4ELj64ELN6hipcub17WarpLoadAlgorithmE3EiEvPT3_S3_
; %bb.0:
	s_load_b128 s[0:3], s[0:1], 0x0
	v_lshrrev_b32_e32 v3, 6, v0
	s_lshl_b32 s4, ttmp9, 10
	v_mbcnt_lo_u32_b32 v6, -1, 0
	v_mov_b32_e32 v5, 0
	s_delay_alu instid0(VALU_DEP_3) | instskip(SKIP_1) | instid1(VALU_DEP_3)
	v_lshl_or_b32 v4, v3, 8, s4
	v_lshlrev_b32_e32 v3, 10, v3
	v_dual_mov_b32 v7, v5 :: v_dual_lshlrev_b32 v8, 2, v6
	s_delay_alu instid0(VALU_DEP_3) | instskip(SKIP_1) | instid1(VALU_DEP_3)
	v_lshlrev_b64_e32 v[1:2], 2, v[4:5]
	v_or_b32_e32 v4, s4, v0
	v_or_b32_e32 v15, v3, v8
	v_lshl_or_b32 v3, v6, 4, v3
	s_delay_alu instid0(VALU_DEP_3) | instskip(SKIP_3) | instid1(VALU_DEP_1)
	v_or_b32_e32 v0, 0x100, v4
	v_or_b32_e32 v6, 0x200, v4
	s_wait_kmcnt 0x0
	v_add_co_u32 v1, vcc_lo, s0, v1
	v_add_co_ci_u32_e64 v2, null, s1, v2, vcc_lo
	s_delay_alu instid0(VALU_DEP_3) | instskip(NEXT) | instid1(VALU_DEP_3)
	v_lshlrev_b64_e32 v[6:7], 2, v[6:7]
	v_add_co_u32 v1, vcc_lo, v1, v8
	s_wait_alu 0xfffd
	s_delay_alu instid0(VALU_DEP_3)
	v_add_co_ci_u32_e64 v2, null, 0, v2, vcc_lo
	v_lshlrev_b64_e32 v[8:9], 2, v[4:5]
	v_or_b32_e32 v4, 0x300, v4
	s_clause 0x3
	global_load_b32 v12, v[1:2], off
	global_load_b32 v13, v[1:2], off offset:256
	global_load_b32 v14, v[1:2], off offset:512
	;; [unrolled: 1-line block ×3, first 2 shown]
	v_mov_b32_e32 v1, v5
	s_wait_loadcnt 0x2
	ds_store_2addr_stride64_b32 v15, v12, v13 offset1:1
	s_wait_loadcnt 0x0
	ds_store_2addr_stride64_b32 v15, v14, v2 offset0:2 offset1:3
	v_lshlrev_b64_e32 v[10:11], 2, v[0:1]
	; wave barrier
	ds_load_b128 v[0:3], v3
	v_lshlrev_b64_e32 v[4:5], 2, v[4:5]
	v_add_co_u32 v8, vcc_lo, s2, v8
	s_wait_alu 0xfffd
	v_add_co_ci_u32_e64 v9, null, s3, v9, vcc_lo
	v_add_co_u32 v10, vcc_lo, s2, v10
	s_wait_alu 0xfffd
	v_add_co_ci_u32_e64 v11, null, s3, v11, vcc_lo
	v_add_co_u32 v6, vcc_lo, s2, v6
	s_wait_alu 0xfffd
	v_add_co_ci_u32_e64 v7, null, s3, v7, vcc_lo
	v_add_co_u32 v4, vcc_lo, s2, v4
	s_wait_alu 0xfffd
	v_add_co_ci_u32_e64 v5, null, s3, v5, vcc_lo
	s_wait_dscnt 0x0
	s_clause 0x3
	global_store_b32 v[8:9], v0, off
	global_store_b32 v[10:11], v1, off
	;; [unrolled: 1-line block ×4, first 2 shown]
	s_endpgm
	.section	.rodata,"a",@progbits
	.p2align	6, 0x0
	.amdhsa_kernel _Z16warp_load_kernelILj256ELj4ELj64ELN6hipcub17WarpLoadAlgorithmE3EiEvPT3_S3_
		.amdhsa_group_segment_fixed_size 4096
		.amdhsa_private_segment_fixed_size 0
		.amdhsa_kernarg_size 16
		.amdhsa_user_sgpr_count 2
		.amdhsa_user_sgpr_dispatch_ptr 0
		.amdhsa_user_sgpr_queue_ptr 0
		.amdhsa_user_sgpr_kernarg_segment_ptr 1
		.amdhsa_user_sgpr_dispatch_id 0
		.amdhsa_user_sgpr_private_segment_size 0
		.amdhsa_wavefront_size32 1
		.amdhsa_uses_dynamic_stack 0
		.amdhsa_enable_private_segment 0
		.amdhsa_system_sgpr_workgroup_id_x 1
		.amdhsa_system_sgpr_workgroup_id_y 0
		.amdhsa_system_sgpr_workgroup_id_z 0
		.amdhsa_system_sgpr_workgroup_info 0
		.amdhsa_system_vgpr_workitem_id 0
		.amdhsa_next_free_vgpr 16
		.amdhsa_next_free_sgpr 5
		.amdhsa_reserve_vcc 1
		.amdhsa_float_round_mode_32 0
		.amdhsa_float_round_mode_16_64 0
		.amdhsa_float_denorm_mode_32 3
		.amdhsa_float_denorm_mode_16_64 3
		.amdhsa_fp16_overflow 0
		.amdhsa_workgroup_processor_mode 1
		.amdhsa_memory_ordered 1
		.amdhsa_forward_progress 1
		.amdhsa_inst_pref_size 4
		.amdhsa_round_robin_scheduling 0
		.amdhsa_exception_fp_ieee_invalid_op 0
		.amdhsa_exception_fp_denorm_src 0
		.amdhsa_exception_fp_ieee_div_zero 0
		.amdhsa_exception_fp_ieee_overflow 0
		.amdhsa_exception_fp_ieee_underflow 0
		.amdhsa_exception_fp_ieee_inexact 0
		.amdhsa_exception_int_div_zero 0
	.end_amdhsa_kernel
	.section	.text._Z16warp_load_kernelILj256ELj4ELj64ELN6hipcub17WarpLoadAlgorithmE3EiEvPT3_S3_,"axG",@progbits,_Z16warp_load_kernelILj256ELj4ELj64ELN6hipcub17WarpLoadAlgorithmE3EiEvPT3_S3_,comdat
.Lfunc_end40:
	.size	_Z16warp_load_kernelILj256ELj4ELj64ELN6hipcub17WarpLoadAlgorithmE3EiEvPT3_S3_, .Lfunc_end40-_Z16warp_load_kernelILj256ELj4ELj64ELN6hipcub17WarpLoadAlgorithmE3EiEvPT3_S3_
                                        ; -- End function
	.set _Z16warp_load_kernelILj256ELj4ELj64ELN6hipcub17WarpLoadAlgorithmE3EiEvPT3_S3_.num_vgpr, 16
	.set _Z16warp_load_kernelILj256ELj4ELj64ELN6hipcub17WarpLoadAlgorithmE3EiEvPT3_S3_.num_agpr, 0
	.set _Z16warp_load_kernelILj256ELj4ELj64ELN6hipcub17WarpLoadAlgorithmE3EiEvPT3_S3_.numbered_sgpr, 5
	.set _Z16warp_load_kernelILj256ELj4ELj64ELN6hipcub17WarpLoadAlgorithmE3EiEvPT3_S3_.num_named_barrier, 0
	.set _Z16warp_load_kernelILj256ELj4ELj64ELN6hipcub17WarpLoadAlgorithmE3EiEvPT3_S3_.private_seg_size, 0
	.set _Z16warp_load_kernelILj256ELj4ELj64ELN6hipcub17WarpLoadAlgorithmE3EiEvPT3_S3_.uses_vcc, 1
	.set _Z16warp_load_kernelILj256ELj4ELj64ELN6hipcub17WarpLoadAlgorithmE3EiEvPT3_S3_.uses_flat_scratch, 0
	.set _Z16warp_load_kernelILj256ELj4ELj64ELN6hipcub17WarpLoadAlgorithmE3EiEvPT3_S3_.has_dyn_sized_stack, 0
	.set _Z16warp_load_kernelILj256ELj4ELj64ELN6hipcub17WarpLoadAlgorithmE3EiEvPT3_S3_.has_recursion, 0
	.set _Z16warp_load_kernelILj256ELj4ELj64ELN6hipcub17WarpLoadAlgorithmE3EiEvPT3_S3_.has_indirect_call, 0
	.section	.AMDGPU.csdata,"",@progbits
; Kernel info:
; codeLenInByte = 396
; TotalNumSgprs: 7
; NumVgprs: 16
; ScratchSize: 0
; MemoryBound: 0
; FloatMode: 240
; IeeeMode: 1
; LDSByteSize: 4096 bytes/workgroup (compile time only)
; SGPRBlocks: 0
; VGPRBlocks: 1
; NumSGPRsForWavesPerEU: 7
; NumVGPRsForWavesPerEU: 16
; Occupancy: 16
; WaveLimiterHint : 1
; COMPUTE_PGM_RSRC2:SCRATCH_EN: 0
; COMPUTE_PGM_RSRC2:USER_SGPR: 2
; COMPUTE_PGM_RSRC2:TRAP_HANDLER: 0
; COMPUTE_PGM_RSRC2:TGID_X_EN: 1
; COMPUTE_PGM_RSRC2:TGID_Y_EN: 0
; COMPUTE_PGM_RSRC2:TGID_Z_EN: 0
; COMPUTE_PGM_RSRC2:TIDIG_COMP_CNT: 0
	.section	.text._Z16warp_load_kernelILj256ELj8ELj64ELN6hipcub17WarpLoadAlgorithmE0EiEvPT3_S3_,"axG",@progbits,_Z16warp_load_kernelILj256ELj8ELj64ELN6hipcub17WarpLoadAlgorithmE0EiEvPT3_S3_,comdat
	.protected	_Z16warp_load_kernelILj256ELj8ELj64ELN6hipcub17WarpLoadAlgorithmE0EiEvPT3_S3_ ; -- Begin function _Z16warp_load_kernelILj256ELj8ELj64ELN6hipcub17WarpLoadAlgorithmE0EiEvPT3_S3_
	.globl	_Z16warp_load_kernelILj256ELj8ELj64ELN6hipcub17WarpLoadAlgorithmE0EiEvPT3_S3_
	.p2align	8
	.type	_Z16warp_load_kernelILj256ELj8ELj64ELN6hipcub17WarpLoadAlgorithmE0EiEvPT3_S3_,@function
_Z16warp_load_kernelILj256ELj8ELj64ELN6hipcub17WarpLoadAlgorithmE0EiEvPT3_S3_: ; @_Z16warp_load_kernelILj256ELj8ELj64ELN6hipcub17WarpLoadAlgorithmE0EiEvPT3_S3_
; %bb.0:
	s_load_b128 s[0:3], s[0:1], 0x0
	v_dual_mov_b32 v10, 0 :: v_dual_lshlrev_b32 v1, 3, v0
	s_lshl_b32 s4, ttmp9, 11
	v_mbcnt_lo_u32_b32 v3, -1, 0
	s_delay_alu instid0(VALU_DEP_2) | instskip(NEXT) | instid1(VALU_DEP_3)
	v_and_or_b32 v9, 0x600, v1, s4
	v_mov_b32_e32 v12, v10
	s_delay_alu instid0(VALU_DEP_3) | instskip(NEXT) | instid1(VALU_DEP_3)
	v_dual_mov_b32 v14, v10 :: v_dual_lshlrev_b32 v3, 5, v3
	v_lshlrev_b64_e32 v[1:2], 2, v[9:10]
	v_or_b32_e32 v9, s4, v0
	s_delay_alu instid0(VALU_DEP_1) | instskip(SKIP_4) | instid1(VALU_DEP_1)
	v_or_b32_e32 v11, 0x500, v9
	v_or_b32_e32 v13, 0x600, v9
	v_lshlrev_b64_e32 v[15:16], 2, v[9:10]
	s_wait_kmcnt 0x0
	v_add_co_u32 v1, vcc_lo, s0, v1
	v_add_co_ci_u32_e64 v2, null, s1, v2, vcc_lo
	v_or_b32_e32 v9, 0x700, v9
	s_delay_alu instid0(VALU_DEP_3) | instskip(SKIP_1) | instid1(VALU_DEP_3)
	v_add_co_u32 v5, vcc_lo, v1, v3
	s_wait_alu 0xfffd
	v_add_co_ci_u32_e64 v6, null, 0, v2, vcc_lo
	v_lshlrev_b64_e32 v[11:12], 2, v[11:12]
	v_lshlrev_b64_e32 v[13:14], 2, v[13:14]
	;; [unrolled: 1-line block ×3, first 2 shown]
	s_clause 0x1
	global_load_b128 v[1:4], v[5:6], off
	global_load_b128 v[5:8], v[5:6], off offset:16
	v_add_co_u32 v15, vcc_lo, s2, v15
	s_wait_alu 0xfffd
	v_add_co_ci_u32_e64 v16, null, s3, v16, vcc_lo
	v_add_co_u32 v11, vcc_lo, s2, v11
	s_wait_alu 0xfffd
	v_add_co_ci_u32_e64 v12, null, s3, v12, vcc_lo
	;; [unrolled: 3-line block ×4, first 2 shown]
	s_wait_loadcnt 0x1
	s_clause 0x3
	global_store_b32 v[15:16], v1, off
	global_store_b32 v[15:16], v2, off offset:1024
	global_store_b32 v[15:16], v3, off offset:2048
	;; [unrolled: 1-line block ×3, first 2 shown]
	s_wait_loadcnt 0x0
	s_clause 0x3
	global_store_b32 v[15:16], v5, off offset:4096
	global_store_b32 v[11:12], v6, off
	global_store_b32 v[13:14], v7, off
	global_store_b32 v[9:10], v8, off
	s_endpgm
	.section	.rodata,"a",@progbits
	.p2align	6, 0x0
	.amdhsa_kernel _Z16warp_load_kernelILj256ELj8ELj64ELN6hipcub17WarpLoadAlgorithmE0EiEvPT3_S3_
		.amdhsa_group_segment_fixed_size 0
		.amdhsa_private_segment_fixed_size 0
		.amdhsa_kernarg_size 16
		.amdhsa_user_sgpr_count 2
		.amdhsa_user_sgpr_dispatch_ptr 0
		.amdhsa_user_sgpr_queue_ptr 0
		.amdhsa_user_sgpr_kernarg_segment_ptr 1
		.amdhsa_user_sgpr_dispatch_id 0
		.amdhsa_user_sgpr_private_segment_size 0
		.amdhsa_wavefront_size32 1
		.amdhsa_uses_dynamic_stack 0
		.amdhsa_enable_private_segment 0
		.amdhsa_system_sgpr_workgroup_id_x 1
		.amdhsa_system_sgpr_workgroup_id_y 0
		.amdhsa_system_sgpr_workgroup_id_z 0
		.amdhsa_system_sgpr_workgroup_info 0
		.amdhsa_system_vgpr_workitem_id 0
		.amdhsa_next_free_vgpr 17
		.amdhsa_next_free_sgpr 5
		.amdhsa_reserve_vcc 1
		.amdhsa_float_round_mode_32 0
		.amdhsa_float_round_mode_16_64 0
		.amdhsa_float_denorm_mode_32 3
		.amdhsa_float_denorm_mode_16_64 3
		.amdhsa_fp16_overflow 0
		.amdhsa_workgroup_processor_mode 1
		.amdhsa_memory_ordered 1
		.amdhsa_forward_progress 1
		.amdhsa_inst_pref_size 3
		.amdhsa_round_robin_scheduling 0
		.amdhsa_exception_fp_ieee_invalid_op 0
		.amdhsa_exception_fp_denorm_src 0
		.amdhsa_exception_fp_ieee_div_zero 0
		.amdhsa_exception_fp_ieee_overflow 0
		.amdhsa_exception_fp_ieee_underflow 0
		.amdhsa_exception_fp_ieee_inexact 0
		.amdhsa_exception_int_div_zero 0
	.end_amdhsa_kernel
	.section	.text._Z16warp_load_kernelILj256ELj8ELj64ELN6hipcub17WarpLoadAlgorithmE0EiEvPT3_S3_,"axG",@progbits,_Z16warp_load_kernelILj256ELj8ELj64ELN6hipcub17WarpLoadAlgorithmE0EiEvPT3_S3_,comdat
.Lfunc_end41:
	.size	_Z16warp_load_kernelILj256ELj8ELj64ELN6hipcub17WarpLoadAlgorithmE0EiEvPT3_S3_, .Lfunc_end41-_Z16warp_load_kernelILj256ELj8ELj64ELN6hipcub17WarpLoadAlgorithmE0EiEvPT3_S3_
                                        ; -- End function
	.set _Z16warp_load_kernelILj256ELj8ELj64ELN6hipcub17WarpLoadAlgorithmE0EiEvPT3_S3_.num_vgpr, 17
	.set _Z16warp_load_kernelILj256ELj8ELj64ELN6hipcub17WarpLoadAlgorithmE0EiEvPT3_S3_.num_agpr, 0
	.set _Z16warp_load_kernelILj256ELj8ELj64ELN6hipcub17WarpLoadAlgorithmE0EiEvPT3_S3_.numbered_sgpr, 5
	.set _Z16warp_load_kernelILj256ELj8ELj64ELN6hipcub17WarpLoadAlgorithmE0EiEvPT3_S3_.num_named_barrier, 0
	.set _Z16warp_load_kernelILj256ELj8ELj64ELN6hipcub17WarpLoadAlgorithmE0EiEvPT3_S3_.private_seg_size, 0
	.set _Z16warp_load_kernelILj256ELj8ELj64ELN6hipcub17WarpLoadAlgorithmE0EiEvPT3_S3_.uses_vcc, 1
	.set _Z16warp_load_kernelILj256ELj8ELj64ELN6hipcub17WarpLoadAlgorithmE0EiEvPT3_S3_.uses_flat_scratch, 0
	.set _Z16warp_load_kernelILj256ELj8ELj64ELN6hipcub17WarpLoadAlgorithmE0EiEvPT3_S3_.has_dyn_sized_stack, 0
	.set _Z16warp_load_kernelILj256ELj8ELj64ELN6hipcub17WarpLoadAlgorithmE0EiEvPT3_S3_.has_recursion, 0
	.set _Z16warp_load_kernelILj256ELj8ELj64ELN6hipcub17WarpLoadAlgorithmE0EiEvPT3_S3_.has_indirect_call, 0
	.section	.AMDGPU.csdata,"",@progbits
; Kernel info:
; codeLenInByte = 380
; TotalNumSgprs: 7
; NumVgprs: 17
; ScratchSize: 0
; MemoryBound: 0
; FloatMode: 240
; IeeeMode: 1
; LDSByteSize: 0 bytes/workgroup (compile time only)
; SGPRBlocks: 0
; VGPRBlocks: 2
; NumSGPRsForWavesPerEU: 7
; NumVGPRsForWavesPerEU: 17
; Occupancy: 16
; WaveLimiterHint : 1
; COMPUTE_PGM_RSRC2:SCRATCH_EN: 0
; COMPUTE_PGM_RSRC2:USER_SGPR: 2
; COMPUTE_PGM_RSRC2:TRAP_HANDLER: 0
; COMPUTE_PGM_RSRC2:TGID_X_EN: 1
; COMPUTE_PGM_RSRC2:TGID_Y_EN: 0
; COMPUTE_PGM_RSRC2:TGID_Z_EN: 0
; COMPUTE_PGM_RSRC2:TIDIG_COMP_CNT: 0
	.section	.text._Z16warp_load_kernelILj256ELj8ELj64ELN6hipcub17WarpLoadAlgorithmE1EiEvPT3_S3_,"axG",@progbits,_Z16warp_load_kernelILj256ELj8ELj64ELN6hipcub17WarpLoadAlgorithmE1EiEvPT3_S3_,comdat
	.protected	_Z16warp_load_kernelILj256ELj8ELj64ELN6hipcub17WarpLoadAlgorithmE1EiEvPT3_S3_ ; -- Begin function _Z16warp_load_kernelILj256ELj8ELj64ELN6hipcub17WarpLoadAlgorithmE1EiEvPT3_S3_
	.globl	_Z16warp_load_kernelILj256ELj8ELj64ELN6hipcub17WarpLoadAlgorithmE1EiEvPT3_S3_
	.p2align	8
	.type	_Z16warp_load_kernelILj256ELj8ELj64ELN6hipcub17WarpLoadAlgorithmE1EiEvPT3_S3_,@function
_Z16warp_load_kernelILj256ELj8ELj64ELN6hipcub17WarpLoadAlgorithmE1EiEvPT3_S3_: ; @_Z16warp_load_kernelILj256ELj8ELj64ELN6hipcub17WarpLoadAlgorithmE1EiEvPT3_S3_
; %bb.0:
	s_load_b128 s[0:3], s[0:1], 0x0
	v_dual_mov_b32 v2, 0 :: v_dual_lshlrev_b32 v1, 3, v0
	s_lshl_b32 s4, ttmp9, 11
	v_mbcnt_lo_u32_b32 v5, -1, 0
	s_delay_alu instid0(VALU_DEP_2) | instskip(NEXT) | instid1(VALU_DEP_3)
	v_and_or_b32 v1, 0x600, v1, s4
	v_mov_b32_e32 v6, v2
	s_delay_alu instid0(VALU_DEP_2) | instskip(NEXT) | instid1(VALU_DEP_4)
	v_lshlrev_b64_e32 v[3:4], 2, v[1:2]
	v_lshlrev_b32_e32 v1, 2, v5
	s_wait_kmcnt 0x0
	s_delay_alu instid0(VALU_DEP_2) | instskip(NEXT) | instid1(VALU_DEP_1)
	v_add_co_u32 v3, vcc_lo, s0, v3
	v_add_co_ci_u32_e64 v4, null, s1, v4, vcc_lo
	s_delay_alu instid0(VALU_DEP_2) | instskip(SKIP_1) | instid1(VALU_DEP_2)
	v_add_co_u32 v3, vcc_lo, v3, v1
	s_wait_alu 0xfffd
	v_add_co_ci_u32_e64 v4, null, 0, v4, vcc_lo
	v_or_b32_e32 v1, s4, v0
	s_clause 0x7
	global_load_b32 v9, v[3:4], off
	global_load_b32 v10, v[3:4], off offset:256
	global_load_b32 v11, v[3:4], off offset:512
	;; [unrolled: 1-line block ×7, first 2 shown]
	v_mov_b32_e32 v4, v2
	v_or_b32_e32 v3, 0x500, v1
	v_or_b32_e32 v5, 0x600, v1
	v_lshlrev_b64_e32 v[7:8], 2, v[1:2]
	v_or_b32_e32 v1, 0x700, v1
	s_delay_alu instid0(VALU_DEP_4) | instskip(NEXT) | instid1(VALU_DEP_4)
	v_lshlrev_b64_e32 v[3:4], 2, v[3:4]
	v_lshlrev_b64_e32 v[5:6], 2, v[5:6]
	s_delay_alu instid0(VALU_DEP_3)
	v_lshlrev_b64_e32 v[0:1], 2, v[1:2]
	v_add_co_u32 v7, vcc_lo, s2, v7
	s_wait_alu 0xfffd
	v_add_co_ci_u32_e64 v8, null, s3, v8, vcc_lo
	v_add_co_u32 v2, vcc_lo, s2, v3
	s_wait_alu 0xfffd
	v_add_co_ci_u32_e64 v3, null, s3, v4, vcc_lo
	;; [unrolled: 3-line block ×4, first 2 shown]
	s_wait_loadcnt 0x7
	global_store_b32 v[7:8], v9, off
	s_wait_loadcnt 0x6
	global_store_b32 v[7:8], v10, off offset:1024
	s_wait_loadcnt 0x5
	global_store_b32 v[7:8], v11, off offset:2048
	;; [unrolled: 2-line block ×4, first 2 shown]
	s_wait_loadcnt 0x2
	global_store_b32 v[2:3], v14, off
	s_wait_loadcnt 0x1
	global_store_b32 v[4:5], v15, off
	;; [unrolled: 2-line block ×3, first 2 shown]
	s_endpgm
	.section	.rodata,"a",@progbits
	.p2align	6, 0x0
	.amdhsa_kernel _Z16warp_load_kernelILj256ELj8ELj64ELN6hipcub17WarpLoadAlgorithmE1EiEvPT3_S3_
		.amdhsa_group_segment_fixed_size 0
		.amdhsa_private_segment_fixed_size 0
		.amdhsa_kernarg_size 16
		.amdhsa_user_sgpr_count 2
		.amdhsa_user_sgpr_dispatch_ptr 0
		.amdhsa_user_sgpr_queue_ptr 0
		.amdhsa_user_sgpr_kernarg_segment_ptr 1
		.amdhsa_user_sgpr_dispatch_id 0
		.amdhsa_user_sgpr_private_segment_size 0
		.amdhsa_wavefront_size32 1
		.amdhsa_uses_dynamic_stack 0
		.amdhsa_enable_private_segment 0
		.amdhsa_system_sgpr_workgroup_id_x 1
		.amdhsa_system_sgpr_workgroup_id_y 0
		.amdhsa_system_sgpr_workgroup_id_z 0
		.amdhsa_system_sgpr_workgroup_info 0
		.amdhsa_system_vgpr_workitem_id 0
		.amdhsa_next_free_vgpr 17
		.amdhsa_next_free_sgpr 5
		.amdhsa_reserve_vcc 1
		.amdhsa_float_round_mode_32 0
		.amdhsa_float_round_mode_16_64 0
		.amdhsa_float_denorm_mode_32 3
		.amdhsa_float_denorm_mode_16_64 3
		.amdhsa_fp16_overflow 0
		.amdhsa_workgroup_processor_mode 1
		.amdhsa_memory_ordered 1
		.amdhsa_forward_progress 1
		.amdhsa_inst_pref_size 4
		.amdhsa_round_robin_scheduling 0
		.amdhsa_exception_fp_ieee_invalid_op 0
		.amdhsa_exception_fp_denorm_src 0
		.amdhsa_exception_fp_ieee_div_zero 0
		.amdhsa_exception_fp_ieee_overflow 0
		.amdhsa_exception_fp_ieee_underflow 0
		.amdhsa_exception_fp_ieee_inexact 0
		.amdhsa_exception_int_div_zero 0
	.end_amdhsa_kernel
	.section	.text._Z16warp_load_kernelILj256ELj8ELj64ELN6hipcub17WarpLoadAlgorithmE1EiEvPT3_S3_,"axG",@progbits,_Z16warp_load_kernelILj256ELj8ELj64ELN6hipcub17WarpLoadAlgorithmE1EiEvPT3_S3_,comdat
.Lfunc_end42:
	.size	_Z16warp_load_kernelILj256ELj8ELj64ELN6hipcub17WarpLoadAlgorithmE1EiEvPT3_S3_, .Lfunc_end42-_Z16warp_load_kernelILj256ELj8ELj64ELN6hipcub17WarpLoadAlgorithmE1EiEvPT3_S3_
                                        ; -- End function
	.set _Z16warp_load_kernelILj256ELj8ELj64ELN6hipcub17WarpLoadAlgorithmE1EiEvPT3_S3_.num_vgpr, 17
	.set _Z16warp_load_kernelILj256ELj8ELj64ELN6hipcub17WarpLoadAlgorithmE1EiEvPT3_S3_.num_agpr, 0
	.set _Z16warp_load_kernelILj256ELj8ELj64ELN6hipcub17WarpLoadAlgorithmE1EiEvPT3_S3_.numbered_sgpr, 5
	.set _Z16warp_load_kernelILj256ELj8ELj64ELN6hipcub17WarpLoadAlgorithmE1EiEvPT3_S3_.num_named_barrier, 0
	.set _Z16warp_load_kernelILj256ELj8ELj64ELN6hipcub17WarpLoadAlgorithmE1EiEvPT3_S3_.private_seg_size, 0
	.set _Z16warp_load_kernelILj256ELj8ELj64ELN6hipcub17WarpLoadAlgorithmE1EiEvPT3_S3_.uses_vcc, 1
	.set _Z16warp_load_kernelILj256ELj8ELj64ELN6hipcub17WarpLoadAlgorithmE1EiEvPT3_S3_.uses_flat_scratch, 0
	.set _Z16warp_load_kernelILj256ELj8ELj64ELN6hipcub17WarpLoadAlgorithmE1EiEvPT3_S3_.has_dyn_sized_stack, 0
	.set _Z16warp_load_kernelILj256ELj8ELj64ELN6hipcub17WarpLoadAlgorithmE1EiEvPT3_S3_.has_recursion, 0
	.set _Z16warp_load_kernelILj256ELj8ELj64ELN6hipcub17WarpLoadAlgorithmE1EiEvPT3_S3_.has_indirect_call, 0
	.section	.AMDGPU.csdata,"",@progbits
; Kernel info:
; codeLenInByte = 476
; TotalNumSgprs: 7
; NumVgprs: 17
; ScratchSize: 0
; MemoryBound: 0
; FloatMode: 240
; IeeeMode: 1
; LDSByteSize: 0 bytes/workgroup (compile time only)
; SGPRBlocks: 0
; VGPRBlocks: 2
; NumSGPRsForWavesPerEU: 7
; NumVGPRsForWavesPerEU: 17
; Occupancy: 16
; WaveLimiterHint : 1
; COMPUTE_PGM_RSRC2:SCRATCH_EN: 0
; COMPUTE_PGM_RSRC2:USER_SGPR: 2
; COMPUTE_PGM_RSRC2:TRAP_HANDLER: 0
; COMPUTE_PGM_RSRC2:TGID_X_EN: 1
; COMPUTE_PGM_RSRC2:TGID_Y_EN: 0
; COMPUTE_PGM_RSRC2:TGID_Z_EN: 0
; COMPUTE_PGM_RSRC2:TIDIG_COMP_CNT: 0
	.section	.text._Z16warp_load_kernelILj256ELj8ELj64ELN6hipcub17WarpLoadAlgorithmE2EiEvPT3_S3_,"axG",@progbits,_Z16warp_load_kernelILj256ELj8ELj64ELN6hipcub17WarpLoadAlgorithmE2EiEvPT3_S3_,comdat
	.protected	_Z16warp_load_kernelILj256ELj8ELj64ELN6hipcub17WarpLoadAlgorithmE2EiEvPT3_S3_ ; -- Begin function _Z16warp_load_kernelILj256ELj8ELj64ELN6hipcub17WarpLoadAlgorithmE2EiEvPT3_S3_
	.globl	_Z16warp_load_kernelILj256ELj8ELj64ELN6hipcub17WarpLoadAlgorithmE2EiEvPT3_S3_
	.p2align	8
	.type	_Z16warp_load_kernelILj256ELj8ELj64ELN6hipcub17WarpLoadAlgorithmE2EiEvPT3_S3_,@function
_Z16warp_load_kernelILj256ELj8ELj64ELN6hipcub17WarpLoadAlgorithmE2EiEvPT3_S3_: ; @_Z16warp_load_kernelILj256ELj8ELj64ELN6hipcub17WarpLoadAlgorithmE2EiEvPT3_S3_
; %bb.0:
	s_load_b128 s[0:3], s[0:1], 0x0
	v_dual_mov_b32 v10, 0 :: v_dual_lshlrev_b32 v1, 3, v0
	s_lshl_b32 s4, ttmp9, 11
	v_mbcnt_lo_u32_b32 v3, -1, 0
	s_delay_alu instid0(VALU_DEP_2) | instskip(NEXT) | instid1(VALU_DEP_3)
	v_and_or_b32 v9, 0x600, v1, s4
	v_mov_b32_e32 v12, v10
	s_delay_alu instid0(VALU_DEP_3) | instskip(NEXT) | instid1(VALU_DEP_3)
	v_dual_mov_b32 v14, v10 :: v_dual_lshlrev_b32 v3, 5, v3
	v_lshlrev_b64_e32 v[1:2], 2, v[9:10]
	v_or_b32_e32 v9, s4, v0
	s_delay_alu instid0(VALU_DEP_1) | instskip(SKIP_4) | instid1(VALU_DEP_1)
	v_or_b32_e32 v11, 0x500, v9
	v_or_b32_e32 v13, 0x600, v9
	v_lshlrev_b64_e32 v[15:16], 2, v[9:10]
	s_wait_kmcnt 0x0
	v_add_co_u32 v1, vcc_lo, s0, v1
	v_add_co_ci_u32_e64 v2, null, s1, v2, vcc_lo
	v_or_b32_e32 v9, 0x700, v9
	s_delay_alu instid0(VALU_DEP_3) | instskip(SKIP_1) | instid1(VALU_DEP_3)
	v_add_co_u32 v5, vcc_lo, v1, v3
	s_wait_alu 0xfffd
	v_add_co_ci_u32_e64 v6, null, 0, v2, vcc_lo
	v_lshlrev_b64_e32 v[11:12], 2, v[11:12]
	v_lshlrev_b64_e32 v[13:14], 2, v[13:14]
	;; [unrolled: 1-line block ×3, first 2 shown]
	s_clause 0x1
	global_load_b128 v[1:4], v[5:6], off
	global_load_b128 v[5:8], v[5:6], off offset:16
	v_add_co_u32 v15, vcc_lo, s2, v15
	s_wait_alu 0xfffd
	v_add_co_ci_u32_e64 v16, null, s3, v16, vcc_lo
	v_add_co_u32 v11, vcc_lo, s2, v11
	s_wait_alu 0xfffd
	v_add_co_ci_u32_e64 v12, null, s3, v12, vcc_lo
	;; [unrolled: 3-line block ×4, first 2 shown]
	s_wait_loadcnt 0x1
	s_clause 0x3
	global_store_b32 v[15:16], v1, off
	global_store_b32 v[15:16], v2, off offset:1024
	global_store_b32 v[15:16], v3, off offset:2048
	;; [unrolled: 1-line block ×3, first 2 shown]
	s_wait_loadcnt 0x0
	s_clause 0x3
	global_store_b32 v[15:16], v5, off offset:4096
	global_store_b32 v[11:12], v6, off
	global_store_b32 v[13:14], v7, off
	;; [unrolled: 1-line block ×3, first 2 shown]
	s_endpgm
	.section	.rodata,"a",@progbits
	.p2align	6, 0x0
	.amdhsa_kernel _Z16warp_load_kernelILj256ELj8ELj64ELN6hipcub17WarpLoadAlgorithmE2EiEvPT3_S3_
		.amdhsa_group_segment_fixed_size 0
		.amdhsa_private_segment_fixed_size 0
		.amdhsa_kernarg_size 16
		.amdhsa_user_sgpr_count 2
		.amdhsa_user_sgpr_dispatch_ptr 0
		.amdhsa_user_sgpr_queue_ptr 0
		.amdhsa_user_sgpr_kernarg_segment_ptr 1
		.amdhsa_user_sgpr_dispatch_id 0
		.amdhsa_user_sgpr_private_segment_size 0
		.amdhsa_wavefront_size32 1
		.amdhsa_uses_dynamic_stack 0
		.amdhsa_enable_private_segment 0
		.amdhsa_system_sgpr_workgroup_id_x 1
		.amdhsa_system_sgpr_workgroup_id_y 0
		.amdhsa_system_sgpr_workgroup_id_z 0
		.amdhsa_system_sgpr_workgroup_info 0
		.amdhsa_system_vgpr_workitem_id 0
		.amdhsa_next_free_vgpr 17
		.amdhsa_next_free_sgpr 5
		.amdhsa_reserve_vcc 1
		.amdhsa_float_round_mode_32 0
		.amdhsa_float_round_mode_16_64 0
		.amdhsa_float_denorm_mode_32 3
		.amdhsa_float_denorm_mode_16_64 3
		.amdhsa_fp16_overflow 0
		.amdhsa_workgroup_processor_mode 1
		.amdhsa_memory_ordered 1
		.amdhsa_forward_progress 1
		.amdhsa_inst_pref_size 3
		.amdhsa_round_robin_scheduling 0
		.amdhsa_exception_fp_ieee_invalid_op 0
		.amdhsa_exception_fp_denorm_src 0
		.amdhsa_exception_fp_ieee_div_zero 0
		.amdhsa_exception_fp_ieee_overflow 0
		.amdhsa_exception_fp_ieee_underflow 0
		.amdhsa_exception_fp_ieee_inexact 0
		.amdhsa_exception_int_div_zero 0
	.end_amdhsa_kernel
	.section	.text._Z16warp_load_kernelILj256ELj8ELj64ELN6hipcub17WarpLoadAlgorithmE2EiEvPT3_S3_,"axG",@progbits,_Z16warp_load_kernelILj256ELj8ELj64ELN6hipcub17WarpLoadAlgorithmE2EiEvPT3_S3_,comdat
.Lfunc_end43:
	.size	_Z16warp_load_kernelILj256ELj8ELj64ELN6hipcub17WarpLoadAlgorithmE2EiEvPT3_S3_, .Lfunc_end43-_Z16warp_load_kernelILj256ELj8ELj64ELN6hipcub17WarpLoadAlgorithmE2EiEvPT3_S3_
                                        ; -- End function
	.set _Z16warp_load_kernelILj256ELj8ELj64ELN6hipcub17WarpLoadAlgorithmE2EiEvPT3_S3_.num_vgpr, 17
	.set _Z16warp_load_kernelILj256ELj8ELj64ELN6hipcub17WarpLoadAlgorithmE2EiEvPT3_S3_.num_agpr, 0
	.set _Z16warp_load_kernelILj256ELj8ELj64ELN6hipcub17WarpLoadAlgorithmE2EiEvPT3_S3_.numbered_sgpr, 5
	.set _Z16warp_load_kernelILj256ELj8ELj64ELN6hipcub17WarpLoadAlgorithmE2EiEvPT3_S3_.num_named_barrier, 0
	.set _Z16warp_load_kernelILj256ELj8ELj64ELN6hipcub17WarpLoadAlgorithmE2EiEvPT3_S3_.private_seg_size, 0
	.set _Z16warp_load_kernelILj256ELj8ELj64ELN6hipcub17WarpLoadAlgorithmE2EiEvPT3_S3_.uses_vcc, 1
	.set _Z16warp_load_kernelILj256ELj8ELj64ELN6hipcub17WarpLoadAlgorithmE2EiEvPT3_S3_.uses_flat_scratch, 0
	.set _Z16warp_load_kernelILj256ELj8ELj64ELN6hipcub17WarpLoadAlgorithmE2EiEvPT3_S3_.has_dyn_sized_stack, 0
	.set _Z16warp_load_kernelILj256ELj8ELj64ELN6hipcub17WarpLoadAlgorithmE2EiEvPT3_S3_.has_recursion, 0
	.set _Z16warp_load_kernelILj256ELj8ELj64ELN6hipcub17WarpLoadAlgorithmE2EiEvPT3_S3_.has_indirect_call, 0
	.section	.AMDGPU.csdata,"",@progbits
; Kernel info:
; codeLenInByte = 380
; TotalNumSgprs: 7
; NumVgprs: 17
; ScratchSize: 0
; MemoryBound: 0
; FloatMode: 240
; IeeeMode: 1
; LDSByteSize: 0 bytes/workgroup (compile time only)
; SGPRBlocks: 0
; VGPRBlocks: 2
; NumSGPRsForWavesPerEU: 7
; NumVGPRsForWavesPerEU: 17
; Occupancy: 16
; WaveLimiterHint : 1
; COMPUTE_PGM_RSRC2:SCRATCH_EN: 0
; COMPUTE_PGM_RSRC2:USER_SGPR: 2
; COMPUTE_PGM_RSRC2:TRAP_HANDLER: 0
; COMPUTE_PGM_RSRC2:TGID_X_EN: 1
; COMPUTE_PGM_RSRC2:TGID_Y_EN: 0
; COMPUTE_PGM_RSRC2:TGID_Z_EN: 0
; COMPUTE_PGM_RSRC2:TIDIG_COMP_CNT: 0
	.section	.text._Z16warp_load_kernelILj256ELj8ELj64ELN6hipcub17WarpLoadAlgorithmE3EiEvPT3_S3_,"axG",@progbits,_Z16warp_load_kernelILj256ELj8ELj64ELN6hipcub17WarpLoadAlgorithmE3EiEvPT3_S3_,comdat
	.protected	_Z16warp_load_kernelILj256ELj8ELj64ELN6hipcub17WarpLoadAlgorithmE3EiEvPT3_S3_ ; -- Begin function _Z16warp_load_kernelILj256ELj8ELj64ELN6hipcub17WarpLoadAlgorithmE3EiEvPT3_S3_
	.globl	_Z16warp_load_kernelILj256ELj8ELj64ELN6hipcub17WarpLoadAlgorithmE3EiEvPT3_S3_
	.p2align	8
	.type	_Z16warp_load_kernelILj256ELj8ELj64ELN6hipcub17WarpLoadAlgorithmE3EiEvPT3_S3_,@function
_Z16warp_load_kernelILj256ELj8ELj64ELN6hipcub17WarpLoadAlgorithmE3EiEvPT3_S3_: ; @_Z16warp_load_kernelILj256ELj8ELj64ELN6hipcub17WarpLoadAlgorithmE3EiEvPT3_S3_
; %bb.0:
	s_load_b128 s[0:3], s[0:1], 0x0
	v_lshrrev_b32_e32 v3, 6, v0
	s_lshl_b32 s4, ttmp9, 11
	v_mbcnt_lo_u32_b32 v6, -1, 0
	v_mov_b32_e32 v5, 0
	s_delay_alu instid0(VALU_DEP_3) | instskip(SKIP_1) | instid1(VALU_DEP_3)
	v_lshl_or_b32 v4, v3, 9, s4
	v_lshlrev_b32_e32 v3, 11, v3
	v_dual_mov_b32 v7, v5 :: v_dual_lshlrev_b32 v8, 2, v6
	s_delay_alu instid0(VALU_DEP_3) | instskip(SKIP_1) | instid1(VALU_DEP_3)
	v_lshlrev_b64_e32 v[1:2], 2, v[4:5]
	v_or_b32_e32 v4, s4, v0
	v_or_b32_e32 v19, v3, v8
	v_lshl_or_b32 v20, v6, 5, v3
	s_delay_alu instid0(VALU_DEP_3) | instskip(SKIP_3) | instid1(VALU_DEP_1)
	v_or_b32_e32 v0, 0x500, v4
	v_or_b32_e32 v6, 0x600, v4
	s_wait_kmcnt 0x0
	v_add_co_u32 v1, vcc_lo, s0, v1
	v_add_co_ci_u32_e64 v2, null, s1, v2, vcc_lo
	s_delay_alu instid0(VALU_DEP_2) | instskip(SKIP_1) | instid1(VALU_DEP_2)
	v_add_co_u32 v1, vcc_lo, v1, v8
	s_wait_alu 0xfffd
	v_add_co_ci_u32_e64 v2, null, 0, v2, vcc_lo
	v_lshlrev_b64_e32 v[8:9], 2, v[4:5]
	v_or_b32_e32 v4, 0x700, v4
	s_clause 0x7
	global_load_b32 v12, v[1:2], off
	global_load_b32 v13, v[1:2], off offset:256
	global_load_b32 v14, v[1:2], off offset:512
	;; [unrolled: 1-line block ×7, first 2 shown]
	v_mov_b32_e32 v1, v5
	s_wait_loadcnt 0x6
	ds_store_2addr_stride64_b32 v19, v12, v13 offset1:1
	s_wait_loadcnt 0x4
	ds_store_2addr_stride64_b32 v19, v14, v15 offset0:2 offset1:3
	s_wait_loadcnt 0x2
	ds_store_2addr_stride64_b32 v19, v16, v17 offset0:4 offset1:5
	;; [unrolled: 2-line block ×3, first 2 shown]
	v_lshlrev_b64_e32 v[10:11], 2, v[0:1]
	; wave barrier
	ds_load_b128 v[0:3], v20
	v_lshlrev_b64_e32 v[12:13], 2, v[6:7]
	v_lshlrev_b64_e32 v[14:15], 2, v[4:5]
	ds_load_b128 v[4:7], v20 offset:16
	v_add_co_u32 v8, vcc_lo, s2, v8
	s_wait_alu 0xfffd
	v_add_co_ci_u32_e64 v9, null, s3, v9, vcc_lo
	v_add_co_u32 v10, vcc_lo, s2, v10
	s_wait_alu 0xfffd
	v_add_co_ci_u32_e64 v11, null, s3, v11, vcc_lo
	;; [unrolled: 3-line block ×4, first 2 shown]
	s_wait_dscnt 0x1
	s_clause 0x3
	global_store_b32 v[8:9], v0, off
	global_store_b32 v[8:9], v1, off offset:1024
	global_store_b32 v[8:9], v2, off offset:2048
	;; [unrolled: 1-line block ×3, first 2 shown]
	s_wait_dscnt 0x0
	s_clause 0x3
	global_store_b32 v[8:9], v4, off offset:4096
	global_store_b32 v[10:11], v5, off
	global_store_b32 v[12:13], v6, off
	;; [unrolled: 1-line block ×3, first 2 shown]
	s_endpgm
	.section	.rodata,"a",@progbits
	.p2align	6, 0x0
	.amdhsa_kernel _Z16warp_load_kernelILj256ELj8ELj64ELN6hipcub17WarpLoadAlgorithmE3EiEvPT3_S3_
		.amdhsa_group_segment_fixed_size 8192
		.amdhsa_private_segment_fixed_size 0
		.amdhsa_kernarg_size 16
		.amdhsa_user_sgpr_count 2
		.amdhsa_user_sgpr_dispatch_ptr 0
		.amdhsa_user_sgpr_queue_ptr 0
		.amdhsa_user_sgpr_kernarg_segment_ptr 1
		.amdhsa_user_sgpr_dispatch_id 0
		.amdhsa_user_sgpr_private_segment_size 0
		.amdhsa_wavefront_size32 1
		.amdhsa_uses_dynamic_stack 0
		.amdhsa_enable_private_segment 0
		.amdhsa_system_sgpr_workgroup_id_x 1
		.amdhsa_system_sgpr_workgroup_id_y 0
		.amdhsa_system_sgpr_workgroup_id_z 0
		.amdhsa_system_sgpr_workgroup_info 0
		.amdhsa_system_vgpr_workitem_id 0
		.amdhsa_next_free_vgpr 21
		.amdhsa_next_free_sgpr 5
		.amdhsa_reserve_vcc 1
		.amdhsa_float_round_mode_32 0
		.amdhsa_float_round_mode_16_64 0
		.amdhsa_float_denorm_mode_32 3
		.amdhsa_float_denorm_mode_16_64 3
		.amdhsa_fp16_overflow 0
		.amdhsa_workgroup_processor_mode 1
		.amdhsa_memory_ordered 1
		.amdhsa_forward_progress 1
		.amdhsa_inst_pref_size 5
		.amdhsa_round_robin_scheduling 0
		.amdhsa_exception_fp_ieee_invalid_op 0
		.amdhsa_exception_fp_denorm_src 0
		.amdhsa_exception_fp_ieee_div_zero 0
		.amdhsa_exception_fp_ieee_overflow 0
		.amdhsa_exception_fp_ieee_underflow 0
		.amdhsa_exception_fp_ieee_inexact 0
		.amdhsa_exception_int_div_zero 0
	.end_amdhsa_kernel
	.section	.text._Z16warp_load_kernelILj256ELj8ELj64ELN6hipcub17WarpLoadAlgorithmE3EiEvPT3_S3_,"axG",@progbits,_Z16warp_load_kernelILj256ELj8ELj64ELN6hipcub17WarpLoadAlgorithmE3EiEvPT3_S3_,comdat
.Lfunc_end44:
	.size	_Z16warp_load_kernelILj256ELj8ELj64ELN6hipcub17WarpLoadAlgorithmE3EiEvPT3_S3_, .Lfunc_end44-_Z16warp_load_kernelILj256ELj8ELj64ELN6hipcub17WarpLoadAlgorithmE3EiEvPT3_S3_
                                        ; -- End function
	.set _Z16warp_load_kernelILj256ELj8ELj64ELN6hipcub17WarpLoadAlgorithmE3EiEvPT3_S3_.num_vgpr, 21
	.set _Z16warp_load_kernelILj256ELj8ELj64ELN6hipcub17WarpLoadAlgorithmE3EiEvPT3_S3_.num_agpr, 0
	.set _Z16warp_load_kernelILj256ELj8ELj64ELN6hipcub17WarpLoadAlgorithmE3EiEvPT3_S3_.numbered_sgpr, 5
	.set _Z16warp_load_kernelILj256ELj8ELj64ELN6hipcub17WarpLoadAlgorithmE3EiEvPT3_S3_.num_named_barrier, 0
	.set _Z16warp_load_kernelILj256ELj8ELj64ELN6hipcub17WarpLoadAlgorithmE3EiEvPT3_S3_.private_seg_size, 0
	.set _Z16warp_load_kernelILj256ELj8ELj64ELN6hipcub17WarpLoadAlgorithmE3EiEvPT3_S3_.uses_vcc, 1
	.set _Z16warp_load_kernelILj256ELj8ELj64ELN6hipcub17WarpLoadAlgorithmE3EiEvPT3_S3_.uses_flat_scratch, 0
	.set _Z16warp_load_kernelILj256ELj8ELj64ELN6hipcub17WarpLoadAlgorithmE3EiEvPT3_S3_.has_dyn_sized_stack, 0
	.set _Z16warp_load_kernelILj256ELj8ELj64ELN6hipcub17WarpLoadAlgorithmE3EiEvPT3_S3_.has_recursion, 0
	.set _Z16warp_load_kernelILj256ELj8ELj64ELN6hipcub17WarpLoadAlgorithmE3EiEvPT3_S3_.has_indirect_call, 0
	.section	.AMDGPU.csdata,"",@progbits
; Kernel info:
; codeLenInByte = 528
; TotalNumSgprs: 7
; NumVgprs: 21
; ScratchSize: 0
; MemoryBound: 0
; FloatMode: 240
; IeeeMode: 1
; LDSByteSize: 8192 bytes/workgroup (compile time only)
; SGPRBlocks: 0
; VGPRBlocks: 2
; NumSGPRsForWavesPerEU: 7
; NumVGPRsForWavesPerEU: 21
; Occupancy: 16
; WaveLimiterHint : 1
; COMPUTE_PGM_RSRC2:SCRATCH_EN: 0
; COMPUTE_PGM_RSRC2:USER_SGPR: 2
; COMPUTE_PGM_RSRC2:TRAP_HANDLER: 0
; COMPUTE_PGM_RSRC2:TGID_X_EN: 1
; COMPUTE_PGM_RSRC2:TGID_Y_EN: 0
; COMPUTE_PGM_RSRC2:TGID_Z_EN: 0
; COMPUTE_PGM_RSRC2:TIDIG_COMP_CNT: 0
	.section	.text._Z16warp_load_kernelILj256ELj16ELj64ELN6hipcub17WarpLoadAlgorithmE0EiEvPT3_S3_,"axG",@progbits,_Z16warp_load_kernelILj256ELj16ELj64ELN6hipcub17WarpLoadAlgorithmE0EiEvPT3_S3_,comdat
	.protected	_Z16warp_load_kernelILj256ELj16ELj64ELN6hipcub17WarpLoadAlgorithmE0EiEvPT3_S3_ ; -- Begin function _Z16warp_load_kernelILj256ELj16ELj64ELN6hipcub17WarpLoadAlgorithmE0EiEvPT3_S3_
	.globl	_Z16warp_load_kernelILj256ELj16ELj64ELN6hipcub17WarpLoadAlgorithmE0EiEvPT3_S3_
	.p2align	8
	.type	_Z16warp_load_kernelILj256ELj16ELj64ELN6hipcub17WarpLoadAlgorithmE0EiEvPT3_S3_,@function
_Z16warp_load_kernelILj256ELj16ELj64ELN6hipcub17WarpLoadAlgorithmE0EiEvPT3_S3_: ; @_Z16warp_load_kernelILj256ELj16ELj64ELN6hipcub17WarpLoadAlgorithmE0EiEvPT3_S3_
; %bb.0:
	s_load_b128 s[0:3], s[0:1], 0x0
	v_dual_mov_b32 v18, 0 :: v_dual_lshlrev_b32 v1, 4, v0
	s_lshl_b32 s4, ttmp9, 12
	v_mbcnt_lo_u32_b32 v3, -1, 0
	s_delay_alu instid0(VALU_DEP_2) | instskip(NEXT) | instid1(VALU_DEP_3)
	v_and_or_b32 v17, 0xc00, v1, s4
	v_mov_b32_e32 v20, v18
	s_delay_alu instid0(VALU_DEP_3) | instskip(NEXT) | instid1(VALU_DEP_3)
	v_dual_mov_b32 v22, v18 :: v_dual_lshlrev_b32 v3, 6, v3
	v_lshlrev_b64_e32 v[1:2], 2, v[17:18]
	v_or_b32_e32 v17, s4, v0
	s_delay_alu instid0(VALU_DEP_1) | instskip(SKIP_4) | instid1(VALU_DEP_1)
	v_or_b32_e32 v19, 0xd00, v17
	v_or_b32_e32 v21, 0xe00, v17
	v_lshlrev_b64_e32 v[23:24], 2, v[17:18]
	s_wait_kmcnt 0x0
	v_add_co_u32 v1, vcc_lo, s0, v1
	v_add_co_ci_u32_e64 v2, null, s1, v2, vcc_lo
	v_or_b32_e32 v17, 0xf00, v17
	s_delay_alu instid0(VALU_DEP_3) | instskip(SKIP_1) | instid1(VALU_DEP_3)
	v_add_co_u32 v13, vcc_lo, v1, v3
	s_wait_alu 0xfffd
	v_add_co_ci_u32_e64 v14, null, 0, v2, vcc_lo
	v_lshlrev_b64_e32 v[19:20], 2, v[19:20]
	v_lshlrev_b64_e32 v[21:22], 2, v[21:22]
	;; [unrolled: 1-line block ×3, first 2 shown]
	s_clause 0x3
	global_load_b128 v[1:4], v[13:14], off
	global_load_b128 v[5:8], v[13:14], off offset:16
	global_load_b128 v[9:12], v[13:14], off offset:32
	;; [unrolled: 1-line block ×3, first 2 shown]
	v_add_co_u32 v23, vcc_lo, s2, v23
	s_wait_alu 0xfffd
	v_add_co_ci_u32_e64 v24, null, s3, v24, vcc_lo
	v_add_co_u32 v19, vcc_lo, s2, v19
	s_wait_alu 0xfffd
	v_add_co_ci_u32_e64 v20, null, s3, v20, vcc_lo
	;; [unrolled: 3-line block ×4, first 2 shown]
	s_wait_loadcnt 0x3
	s_clause 0x3
	global_store_b32 v[23:24], v1, off
	global_store_b32 v[23:24], v2, off offset:1024
	global_store_b32 v[23:24], v3, off offset:2048
	global_store_b32 v[23:24], v4, off offset:3072
	s_wait_loadcnt 0x2
	s_clause 0x3
	global_store_b32 v[23:24], v5, off offset:4096
	global_store_b32 v[23:24], v6, off offset:5120
	global_store_b32 v[23:24], v7, off offset:6144
	global_store_b32 v[23:24], v8, off offset:7168
	s_wait_loadcnt 0x1
	s_clause 0x3
	global_store_b32 v[23:24], v9, off offset:8192
	;; [unrolled: 6-line block ×3, first 2 shown]
	global_store_b32 v[19:20], v14, off
	global_store_b32 v[21:22], v15, off
	;; [unrolled: 1-line block ×3, first 2 shown]
	s_endpgm
	.section	.rodata,"a",@progbits
	.p2align	6, 0x0
	.amdhsa_kernel _Z16warp_load_kernelILj256ELj16ELj64ELN6hipcub17WarpLoadAlgorithmE0EiEvPT3_S3_
		.amdhsa_group_segment_fixed_size 0
		.amdhsa_private_segment_fixed_size 0
		.amdhsa_kernarg_size 16
		.amdhsa_user_sgpr_count 2
		.amdhsa_user_sgpr_dispatch_ptr 0
		.amdhsa_user_sgpr_queue_ptr 0
		.amdhsa_user_sgpr_kernarg_segment_ptr 1
		.amdhsa_user_sgpr_dispatch_id 0
		.amdhsa_user_sgpr_private_segment_size 0
		.amdhsa_wavefront_size32 1
		.amdhsa_uses_dynamic_stack 0
		.amdhsa_enable_private_segment 0
		.amdhsa_system_sgpr_workgroup_id_x 1
		.amdhsa_system_sgpr_workgroup_id_y 0
		.amdhsa_system_sgpr_workgroup_id_z 0
		.amdhsa_system_sgpr_workgroup_info 0
		.amdhsa_system_vgpr_workitem_id 0
		.amdhsa_next_free_vgpr 25
		.amdhsa_next_free_sgpr 5
		.amdhsa_reserve_vcc 1
		.amdhsa_float_round_mode_32 0
		.amdhsa_float_round_mode_16_64 0
		.amdhsa_float_denorm_mode_32 3
		.amdhsa_float_denorm_mode_16_64 3
		.amdhsa_fp16_overflow 0
		.amdhsa_workgroup_processor_mode 1
		.amdhsa_memory_ordered 1
		.amdhsa_forward_progress 1
		.amdhsa_inst_pref_size 5
		.amdhsa_round_robin_scheduling 0
		.amdhsa_exception_fp_ieee_invalid_op 0
		.amdhsa_exception_fp_denorm_src 0
		.amdhsa_exception_fp_ieee_div_zero 0
		.amdhsa_exception_fp_ieee_overflow 0
		.amdhsa_exception_fp_ieee_underflow 0
		.amdhsa_exception_fp_ieee_inexact 0
		.amdhsa_exception_int_div_zero 0
	.end_amdhsa_kernel
	.section	.text._Z16warp_load_kernelILj256ELj16ELj64ELN6hipcub17WarpLoadAlgorithmE0EiEvPT3_S3_,"axG",@progbits,_Z16warp_load_kernelILj256ELj16ELj64ELN6hipcub17WarpLoadAlgorithmE0EiEvPT3_S3_,comdat
.Lfunc_end45:
	.size	_Z16warp_load_kernelILj256ELj16ELj64ELN6hipcub17WarpLoadAlgorithmE0EiEvPT3_S3_, .Lfunc_end45-_Z16warp_load_kernelILj256ELj16ELj64ELN6hipcub17WarpLoadAlgorithmE0EiEvPT3_S3_
                                        ; -- End function
	.set _Z16warp_load_kernelILj256ELj16ELj64ELN6hipcub17WarpLoadAlgorithmE0EiEvPT3_S3_.num_vgpr, 25
	.set _Z16warp_load_kernelILj256ELj16ELj64ELN6hipcub17WarpLoadAlgorithmE0EiEvPT3_S3_.num_agpr, 0
	.set _Z16warp_load_kernelILj256ELj16ELj64ELN6hipcub17WarpLoadAlgorithmE0EiEvPT3_S3_.numbered_sgpr, 5
	.set _Z16warp_load_kernelILj256ELj16ELj64ELN6hipcub17WarpLoadAlgorithmE0EiEvPT3_S3_.num_named_barrier, 0
	.set _Z16warp_load_kernelILj256ELj16ELj64ELN6hipcub17WarpLoadAlgorithmE0EiEvPT3_S3_.private_seg_size, 0
	.set _Z16warp_load_kernelILj256ELj16ELj64ELN6hipcub17WarpLoadAlgorithmE0EiEvPT3_S3_.uses_vcc, 1
	.set _Z16warp_load_kernelILj256ELj16ELj64ELN6hipcub17WarpLoadAlgorithmE0EiEvPT3_S3_.uses_flat_scratch, 0
	.set _Z16warp_load_kernelILj256ELj16ELj64ELN6hipcub17WarpLoadAlgorithmE0EiEvPT3_S3_.has_dyn_sized_stack, 0
	.set _Z16warp_load_kernelILj256ELj16ELj64ELN6hipcub17WarpLoadAlgorithmE0EiEvPT3_S3_.has_recursion, 0
	.set _Z16warp_load_kernelILj256ELj16ELj64ELN6hipcub17WarpLoadAlgorithmE0EiEvPT3_S3_.has_indirect_call, 0
	.section	.AMDGPU.csdata,"",@progbits
; Kernel info:
; codeLenInByte = 516
; TotalNumSgprs: 7
; NumVgprs: 25
; ScratchSize: 0
; MemoryBound: 0
; FloatMode: 240
; IeeeMode: 1
; LDSByteSize: 0 bytes/workgroup (compile time only)
; SGPRBlocks: 0
; VGPRBlocks: 3
; NumSGPRsForWavesPerEU: 7
; NumVGPRsForWavesPerEU: 25
; Occupancy: 16
; WaveLimiterHint : 1
; COMPUTE_PGM_RSRC2:SCRATCH_EN: 0
; COMPUTE_PGM_RSRC2:USER_SGPR: 2
; COMPUTE_PGM_RSRC2:TRAP_HANDLER: 0
; COMPUTE_PGM_RSRC2:TGID_X_EN: 1
; COMPUTE_PGM_RSRC2:TGID_Y_EN: 0
; COMPUTE_PGM_RSRC2:TGID_Z_EN: 0
; COMPUTE_PGM_RSRC2:TIDIG_COMP_CNT: 0
	.section	.text._Z16warp_load_kernelILj256ELj16ELj64ELN6hipcub17WarpLoadAlgorithmE1EiEvPT3_S3_,"axG",@progbits,_Z16warp_load_kernelILj256ELj16ELj64ELN6hipcub17WarpLoadAlgorithmE1EiEvPT3_S3_,comdat
	.protected	_Z16warp_load_kernelILj256ELj16ELj64ELN6hipcub17WarpLoadAlgorithmE1EiEvPT3_S3_ ; -- Begin function _Z16warp_load_kernelILj256ELj16ELj64ELN6hipcub17WarpLoadAlgorithmE1EiEvPT3_S3_
	.globl	_Z16warp_load_kernelILj256ELj16ELj64ELN6hipcub17WarpLoadAlgorithmE1EiEvPT3_S3_
	.p2align	8
	.type	_Z16warp_load_kernelILj256ELj16ELj64ELN6hipcub17WarpLoadAlgorithmE1EiEvPT3_S3_,@function
_Z16warp_load_kernelILj256ELj16ELj64ELN6hipcub17WarpLoadAlgorithmE1EiEvPT3_S3_: ; @_Z16warp_load_kernelILj256ELj16ELj64ELN6hipcub17WarpLoadAlgorithmE1EiEvPT3_S3_
; %bb.0:
	s_load_b128 s[0:3], s[0:1], 0x0
	v_dual_mov_b32 v2, 0 :: v_dual_lshlrev_b32 v1, 4, v0
	s_lshl_b32 s4, ttmp9, 12
	v_mbcnt_lo_u32_b32 v5, -1, 0
	s_delay_alu instid0(VALU_DEP_2) | instskip(NEXT) | instid1(VALU_DEP_3)
	v_and_or_b32 v1, 0xc00, v1, s4
	v_mov_b32_e32 v6, v2
	s_delay_alu instid0(VALU_DEP_2) | instskip(NEXT) | instid1(VALU_DEP_4)
	v_lshlrev_b64_e32 v[3:4], 2, v[1:2]
	v_lshlrev_b32_e32 v1, 2, v5
	s_wait_kmcnt 0x0
	s_delay_alu instid0(VALU_DEP_2) | instskip(NEXT) | instid1(VALU_DEP_1)
	v_add_co_u32 v3, vcc_lo, s0, v3
	v_add_co_ci_u32_e64 v4, null, s1, v4, vcc_lo
	s_delay_alu instid0(VALU_DEP_2) | instskip(SKIP_1) | instid1(VALU_DEP_2)
	v_add_co_u32 v3, vcc_lo, v3, v1
	s_wait_alu 0xfffd
	v_add_co_ci_u32_e64 v4, null, 0, v4, vcc_lo
	v_or_b32_e32 v1, s4, v0
	s_clause 0xf
	global_load_b32 v9, v[3:4], off
	global_load_b32 v10, v[3:4], off offset:256
	global_load_b32 v11, v[3:4], off offset:512
	;; [unrolled: 1-line block ×15, first 2 shown]
	v_mov_b32_e32 v4, v2
	v_or_b32_e32 v3, 0xd00, v1
	v_or_b32_e32 v5, 0xe00, v1
	v_lshlrev_b64_e32 v[7:8], 2, v[1:2]
	v_or_b32_e32 v1, 0xf00, v1
	s_delay_alu instid0(VALU_DEP_4) | instskip(NEXT) | instid1(VALU_DEP_4)
	v_lshlrev_b64_e32 v[3:4], 2, v[3:4]
	v_lshlrev_b64_e32 v[5:6], 2, v[5:6]
	s_delay_alu instid0(VALU_DEP_3)
	v_lshlrev_b64_e32 v[0:1], 2, v[1:2]
	v_add_co_u32 v7, vcc_lo, s2, v7
	s_wait_alu 0xfffd
	v_add_co_ci_u32_e64 v8, null, s3, v8, vcc_lo
	v_add_co_u32 v2, vcc_lo, s2, v3
	s_wait_alu 0xfffd
	v_add_co_ci_u32_e64 v3, null, s3, v4, vcc_lo
	;; [unrolled: 3-line block ×4, first 2 shown]
	s_wait_loadcnt 0xf
	global_store_b32 v[7:8], v9, off
	s_wait_loadcnt 0xe
	global_store_b32 v[7:8], v10, off offset:1024
	s_wait_loadcnt 0xd
	global_store_b32 v[7:8], v11, off offset:2048
	;; [unrolled: 2-line block ×12, first 2 shown]
	s_wait_loadcnt 0x2
	global_store_b32 v[2:3], v22, off
	s_wait_loadcnt 0x1
	global_store_b32 v[4:5], v23, off
	;; [unrolled: 2-line block ×3, first 2 shown]
	s_endpgm
	.section	.rodata,"a",@progbits
	.p2align	6, 0x0
	.amdhsa_kernel _Z16warp_load_kernelILj256ELj16ELj64ELN6hipcub17WarpLoadAlgorithmE1EiEvPT3_S3_
		.amdhsa_group_segment_fixed_size 0
		.amdhsa_private_segment_fixed_size 0
		.amdhsa_kernarg_size 16
		.amdhsa_user_sgpr_count 2
		.amdhsa_user_sgpr_dispatch_ptr 0
		.amdhsa_user_sgpr_queue_ptr 0
		.amdhsa_user_sgpr_kernarg_segment_ptr 1
		.amdhsa_user_sgpr_dispatch_id 0
		.amdhsa_user_sgpr_private_segment_size 0
		.amdhsa_wavefront_size32 1
		.amdhsa_uses_dynamic_stack 0
		.amdhsa_enable_private_segment 0
		.amdhsa_system_sgpr_workgroup_id_x 1
		.amdhsa_system_sgpr_workgroup_id_y 0
		.amdhsa_system_sgpr_workgroup_id_z 0
		.amdhsa_system_sgpr_workgroup_info 0
		.amdhsa_system_vgpr_workitem_id 0
		.amdhsa_next_free_vgpr 25
		.amdhsa_next_free_sgpr 5
		.amdhsa_reserve_vcc 1
		.amdhsa_float_round_mode_32 0
		.amdhsa_float_round_mode_16_64 0
		.amdhsa_float_denorm_mode_32 3
		.amdhsa_float_denorm_mode_16_64 3
		.amdhsa_fp16_overflow 0
		.amdhsa_workgroup_processor_mode 1
		.amdhsa_memory_ordered 1
		.amdhsa_forward_progress 1
		.amdhsa_inst_pref_size 6
		.amdhsa_round_robin_scheduling 0
		.amdhsa_exception_fp_ieee_invalid_op 0
		.amdhsa_exception_fp_denorm_src 0
		.amdhsa_exception_fp_ieee_div_zero 0
		.amdhsa_exception_fp_ieee_overflow 0
		.amdhsa_exception_fp_ieee_underflow 0
		.amdhsa_exception_fp_ieee_inexact 0
		.amdhsa_exception_int_div_zero 0
	.end_amdhsa_kernel
	.section	.text._Z16warp_load_kernelILj256ELj16ELj64ELN6hipcub17WarpLoadAlgorithmE1EiEvPT3_S3_,"axG",@progbits,_Z16warp_load_kernelILj256ELj16ELj64ELN6hipcub17WarpLoadAlgorithmE1EiEvPT3_S3_,comdat
.Lfunc_end46:
	.size	_Z16warp_load_kernelILj256ELj16ELj64ELN6hipcub17WarpLoadAlgorithmE1EiEvPT3_S3_, .Lfunc_end46-_Z16warp_load_kernelILj256ELj16ELj64ELN6hipcub17WarpLoadAlgorithmE1EiEvPT3_S3_
                                        ; -- End function
	.set _Z16warp_load_kernelILj256ELj16ELj64ELN6hipcub17WarpLoadAlgorithmE1EiEvPT3_S3_.num_vgpr, 25
	.set _Z16warp_load_kernelILj256ELj16ELj64ELN6hipcub17WarpLoadAlgorithmE1EiEvPT3_S3_.num_agpr, 0
	.set _Z16warp_load_kernelILj256ELj16ELj64ELN6hipcub17WarpLoadAlgorithmE1EiEvPT3_S3_.numbered_sgpr, 5
	.set _Z16warp_load_kernelILj256ELj16ELj64ELN6hipcub17WarpLoadAlgorithmE1EiEvPT3_S3_.num_named_barrier, 0
	.set _Z16warp_load_kernelILj256ELj16ELj64ELN6hipcub17WarpLoadAlgorithmE1EiEvPT3_S3_.private_seg_size, 0
	.set _Z16warp_load_kernelILj256ELj16ELj64ELN6hipcub17WarpLoadAlgorithmE1EiEvPT3_S3_.uses_vcc, 1
	.set _Z16warp_load_kernelILj256ELj16ELj64ELN6hipcub17WarpLoadAlgorithmE1EiEvPT3_S3_.uses_flat_scratch, 0
	.set _Z16warp_load_kernelILj256ELj16ELj64ELN6hipcub17WarpLoadAlgorithmE1EiEvPT3_S3_.has_dyn_sized_stack, 0
	.set _Z16warp_load_kernelILj256ELj16ELj64ELN6hipcub17WarpLoadAlgorithmE1EiEvPT3_S3_.has_recursion, 0
	.set _Z16warp_load_kernelILj256ELj16ELj64ELN6hipcub17WarpLoadAlgorithmE1EiEvPT3_S3_.has_indirect_call, 0
	.section	.AMDGPU.csdata,"",@progbits
; Kernel info:
; codeLenInByte = 700
; TotalNumSgprs: 7
; NumVgprs: 25
; ScratchSize: 0
; MemoryBound: 1
; FloatMode: 240
; IeeeMode: 1
; LDSByteSize: 0 bytes/workgroup (compile time only)
; SGPRBlocks: 0
; VGPRBlocks: 3
; NumSGPRsForWavesPerEU: 7
; NumVGPRsForWavesPerEU: 25
; Occupancy: 16
; WaveLimiterHint : 1
; COMPUTE_PGM_RSRC2:SCRATCH_EN: 0
; COMPUTE_PGM_RSRC2:USER_SGPR: 2
; COMPUTE_PGM_RSRC2:TRAP_HANDLER: 0
; COMPUTE_PGM_RSRC2:TGID_X_EN: 1
; COMPUTE_PGM_RSRC2:TGID_Y_EN: 0
; COMPUTE_PGM_RSRC2:TGID_Z_EN: 0
; COMPUTE_PGM_RSRC2:TIDIG_COMP_CNT: 0
	.section	.text._Z16warp_load_kernelILj256ELj16ELj64ELN6hipcub17WarpLoadAlgorithmE2EiEvPT3_S3_,"axG",@progbits,_Z16warp_load_kernelILj256ELj16ELj64ELN6hipcub17WarpLoadAlgorithmE2EiEvPT3_S3_,comdat
	.protected	_Z16warp_load_kernelILj256ELj16ELj64ELN6hipcub17WarpLoadAlgorithmE2EiEvPT3_S3_ ; -- Begin function _Z16warp_load_kernelILj256ELj16ELj64ELN6hipcub17WarpLoadAlgorithmE2EiEvPT3_S3_
	.globl	_Z16warp_load_kernelILj256ELj16ELj64ELN6hipcub17WarpLoadAlgorithmE2EiEvPT3_S3_
	.p2align	8
	.type	_Z16warp_load_kernelILj256ELj16ELj64ELN6hipcub17WarpLoadAlgorithmE2EiEvPT3_S3_,@function
_Z16warp_load_kernelILj256ELj16ELj64ELN6hipcub17WarpLoadAlgorithmE2EiEvPT3_S3_: ; @_Z16warp_load_kernelILj256ELj16ELj64ELN6hipcub17WarpLoadAlgorithmE2EiEvPT3_S3_
; %bb.0:
	s_load_b128 s[0:3], s[0:1], 0x0
	v_dual_mov_b32 v18, 0 :: v_dual_lshlrev_b32 v1, 4, v0
	s_lshl_b32 s4, ttmp9, 12
	v_mbcnt_lo_u32_b32 v3, -1, 0
	s_delay_alu instid0(VALU_DEP_2) | instskip(NEXT) | instid1(VALU_DEP_3)
	v_and_or_b32 v17, 0xc00, v1, s4
	v_mov_b32_e32 v20, v18
	s_delay_alu instid0(VALU_DEP_3) | instskip(NEXT) | instid1(VALU_DEP_3)
	v_dual_mov_b32 v22, v18 :: v_dual_lshlrev_b32 v3, 6, v3
	v_lshlrev_b64_e32 v[1:2], 2, v[17:18]
	v_or_b32_e32 v17, s4, v0
	s_delay_alu instid0(VALU_DEP_1) | instskip(SKIP_4) | instid1(VALU_DEP_1)
	v_or_b32_e32 v19, 0xd00, v17
	v_or_b32_e32 v21, 0xe00, v17
	v_lshlrev_b64_e32 v[23:24], 2, v[17:18]
	s_wait_kmcnt 0x0
	v_add_co_u32 v1, vcc_lo, s0, v1
	v_add_co_ci_u32_e64 v2, null, s1, v2, vcc_lo
	v_or_b32_e32 v17, 0xf00, v17
	s_delay_alu instid0(VALU_DEP_3) | instskip(SKIP_1) | instid1(VALU_DEP_3)
	v_add_co_u32 v13, vcc_lo, v1, v3
	s_wait_alu 0xfffd
	v_add_co_ci_u32_e64 v14, null, 0, v2, vcc_lo
	v_lshlrev_b64_e32 v[19:20], 2, v[19:20]
	v_lshlrev_b64_e32 v[21:22], 2, v[21:22]
	;; [unrolled: 1-line block ×3, first 2 shown]
	s_clause 0x3
	global_load_b128 v[1:4], v[13:14], off
	global_load_b128 v[5:8], v[13:14], off offset:16
	global_load_b128 v[9:12], v[13:14], off offset:32
	;; [unrolled: 1-line block ×3, first 2 shown]
	v_add_co_u32 v23, vcc_lo, s2, v23
	s_wait_alu 0xfffd
	v_add_co_ci_u32_e64 v24, null, s3, v24, vcc_lo
	v_add_co_u32 v19, vcc_lo, s2, v19
	s_wait_alu 0xfffd
	v_add_co_ci_u32_e64 v20, null, s3, v20, vcc_lo
	;; [unrolled: 3-line block ×4, first 2 shown]
	s_wait_loadcnt 0x3
	s_clause 0x3
	global_store_b32 v[23:24], v1, off
	global_store_b32 v[23:24], v2, off offset:1024
	global_store_b32 v[23:24], v3, off offset:2048
	global_store_b32 v[23:24], v4, off offset:3072
	s_wait_loadcnt 0x2
	s_clause 0x3
	global_store_b32 v[23:24], v5, off offset:4096
	global_store_b32 v[23:24], v6, off offset:5120
	global_store_b32 v[23:24], v7, off offset:6144
	global_store_b32 v[23:24], v8, off offset:7168
	s_wait_loadcnt 0x1
	s_clause 0x3
	global_store_b32 v[23:24], v9, off offset:8192
	;; [unrolled: 6-line block ×3, first 2 shown]
	global_store_b32 v[19:20], v14, off
	global_store_b32 v[21:22], v15, off
	;; [unrolled: 1-line block ×3, first 2 shown]
	s_endpgm
	.section	.rodata,"a",@progbits
	.p2align	6, 0x0
	.amdhsa_kernel _Z16warp_load_kernelILj256ELj16ELj64ELN6hipcub17WarpLoadAlgorithmE2EiEvPT3_S3_
		.amdhsa_group_segment_fixed_size 0
		.amdhsa_private_segment_fixed_size 0
		.amdhsa_kernarg_size 16
		.amdhsa_user_sgpr_count 2
		.amdhsa_user_sgpr_dispatch_ptr 0
		.amdhsa_user_sgpr_queue_ptr 0
		.amdhsa_user_sgpr_kernarg_segment_ptr 1
		.amdhsa_user_sgpr_dispatch_id 0
		.amdhsa_user_sgpr_private_segment_size 0
		.amdhsa_wavefront_size32 1
		.amdhsa_uses_dynamic_stack 0
		.amdhsa_enable_private_segment 0
		.amdhsa_system_sgpr_workgroup_id_x 1
		.amdhsa_system_sgpr_workgroup_id_y 0
		.amdhsa_system_sgpr_workgroup_id_z 0
		.amdhsa_system_sgpr_workgroup_info 0
		.amdhsa_system_vgpr_workitem_id 0
		.amdhsa_next_free_vgpr 25
		.amdhsa_next_free_sgpr 5
		.amdhsa_reserve_vcc 1
		.amdhsa_float_round_mode_32 0
		.amdhsa_float_round_mode_16_64 0
		.amdhsa_float_denorm_mode_32 3
		.amdhsa_float_denorm_mode_16_64 3
		.amdhsa_fp16_overflow 0
		.amdhsa_workgroup_processor_mode 1
		.amdhsa_memory_ordered 1
		.amdhsa_forward_progress 1
		.amdhsa_inst_pref_size 5
		.amdhsa_round_robin_scheduling 0
		.amdhsa_exception_fp_ieee_invalid_op 0
		.amdhsa_exception_fp_denorm_src 0
		.amdhsa_exception_fp_ieee_div_zero 0
		.amdhsa_exception_fp_ieee_overflow 0
		.amdhsa_exception_fp_ieee_underflow 0
		.amdhsa_exception_fp_ieee_inexact 0
		.amdhsa_exception_int_div_zero 0
	.end_amdhsa_kernel
	.section	.text._Z16warp_load_kernelILj256ELj16ELj64ELN6hipcub17WarpLoadAlgorithmE2EiEvPT3_S3_,"axG",@progbits,_Z16warp_load_kernelILj256ELj16ELj64ELN6hipcub17WarpLoadAlgorithmE2EiEvPT3_S3_,comdat
.Lfunc_end47:
	.size	_Z16warp_load_kernelILj256ELj16ELj64ELN6hipcub17WarpLoadAlgorithmE2EiEvPT3_S3_, .Lfunc_end47-_Z16warp_load_kernelILj256ELj16ELj64ELN6hipcub17WarpLoadAlgorithmE2EiEvPT3_S3_
                                        ; -- End function
	.set _Z16warp_load_kernelILj256ELj16ELj64ELN6hipcub17WarpLoadAlgorithmE2EiEvPT3_S3_.num_vgpr, 25
	.set _Z16warp_load_kernelILj256ELj16ELj64ELN6hipcub17WarpLoadAlgorithmE2EiEvPT3_S3_.num_agpr, 0
	.set _Z16warp_load_kernelILj256ELj16ELj64ELN6hipcub17WarpLoadAlgorithmE2EiEvPT3_S3_.numbered_sgpr, 5
	.set _Z16warp_load_kernelILj256ELj16ELj64ELN6hipcub17WarpLoadAlgorithmE2EiEvPT3_S3_.num_named_barrier, 0
	.set _Z16warp_load_kernelILj256ELj16ELj64ELN6hipcub17WarpLoadAlgorithmE2EiEvPT3_S3_.private_seg_size, 0
	.set _Z16warp_load_kernelILj256ELj16ELj64ELN6hipcub17WarpLoadAlgorithmE2EiEvPT3_S3_.uses_vcc, 1
	.set _Z16warp_load_kernelILj256ELj16ELj64ELN6hipcub17WarpLoadAlgorithmE2EiEvPT3_S3_.uses_flat_scratch, 0
	.set _Z16warp_load_kernelILj256ELj16ELj64ELN6hipcub17WarpLoadAlgorithmE2EiEvPT3_S3_.has_dyn_sized_stack, 0
	.set _Z16warp_load_kernelILj256ELj16ELj64ELN6hipcub17WarpLoadAlgorithmE2EiEvPT3_S3_.has_recursion, 0
	.set _Z16warp_load_kernelILj256ELj16ELj64ELN6hipcub17WarpLoadAlgorithmE2EiEvPT3_S3_.has_indirect_call, 0
	.section	.AMDGPU.csdata,"",@progbits
; Kernel info:
; codeLenInByte = 516
; TotalNumSgprs: 7
; NumVgprs: 25
; ScratchSize: 0
; MemoryBound: 0
; FloatMode: 240
; IeeeMode: 1
; LDSByteSize: 0 bytes/workgroup (compile time only)
; SGPRBlocks: 0
; VGPRBlocks: 3
; NumSGPRsForWavesPerEU: 7
; NumVGPRsForWavesPerEU: 25
; Occupancy: 16
; WaveLimiterHint : 1
; COMPUTE_PGM_RSRC2:SCRATCH_EN: 0
; COMPUTE_PGM_RSRC2:USER_SGPR: 2
; COMPUTE_PGM_RSRC2:TRAP_HANDLER: 0
; COMPUTE_PGM_RSRC2:TGID_X_EN: 1
; COMPUTE_PGM_RSRC2:TGID_Y_EN: 0
; COMPUTE_PGM_RSRC2:TGID_Z_EN: 0
; COMPUTE_PGM_RSRC2:TIDIG_COMP_CNT: 0
	.section	.text._Z16warp_load_kernelILj256ELj16ELj64ELN6hipcub17WarpLoadAlgorithmE3EiEvPT3_S3_,"axG",@progbits,_Z16warp_load_kernelILj256ELj16ELj64ELN6hipcub17WarpLoadAlgorithmE3EiEvPT3_S3_,comdat
	.protected	_Z16warp_load_kernelILj256ELj16ELj64ELN6hipcub17WarpLoadAlgorithmE3EiEvPT3_S3_ ; -- Begin function _Z16warp_load_kernelILj256ELj16ELj64ELN6hipcub17WarpLoadAlgorithmE3EiEvPT3_S3_
	.globl	_Z16warp_load_kernelILj256ELj16ELj64ELN6hipcub17WarpLoadAlgorithmE3EiEvPT3_S3_
	.p2align	8
	.type	_Z16warp_load_kernelILj256ELj16ELj64ELN6hipcub17WarpLoadAlgorithmE3EiEvPT3_S3_,@function
_Z16warp_load_kernelILj256ELj16ELj64ELN6hipcub17WarpLoadAlgorithmE3EiEvPT3_S3_: ; @_Z16warp_load_kernelILj256ELj16ELj64ELN6hipcub17WarpLoadAlgorithmE3EiEvPT3_S3_
; %bb.0:
	s_load_b128 s[0:3], s[0:1], 0x0
	v_lshrrev_b32_e32 v5, 6, v0
	s_lshl_b32 s4, ttmp9, 12
	v_mov_b32_e32 v2, 0
	v_mbcnt_lo_u32_b32 v7, -1, 0
	s_delay_alu instid0(VALU_DEP_3) | instskip(NEXT) | instid1(VALU_DEP_3)
	v_lshl_or_b32 v1, v5, 10, s4
	v_mov_b32_e32 v6, v2
	s_delay_alu instid0(VALU_DEP_3) | instskip(NEXT) | instid1(VALU_DEP_3)
	v_lshlrev_b32_e32 v10, 2, v7
	v_lshlrev_b64_e32 v[3:4], 2, v[1:2]
	s_wait_kmcnt 0x0
	s_delay_alu instid0(VALU_DEP_1) | instskip(NEXT) | instid1(VALU_DEP_1)
	v_add_co_u32 v1, vcc_lo, s0, v3
	v_add_co_ci_u32_e64 v4, null, s1, v4, vcc_lo
	s_delay_alu instid0(VALU_DEP_2) | instskip(SKIP_1) | instid1(VALU_DEP_2)
	v_add_co_u32 v3, vcc_lo, v1, v10
	s_wait_alu 0xfffd
	v_add_co_ci_u32_e64 v4, null, 0, v4, vcc_lo
	v_or_b32_e32 v1, s4, v0
	v_lshlrev_b32_e32 v0, 12, v5
	s_clause 0xf
	global_load_b32 v11, v[3:4], off
	global_load_b32 v14, v[3:4], off offset:256
	global_load_b32 v15, v[3:4], off offset:512
	;; [unrolled: 1-line block ×15, first 2 shown]
	v_mov_b32_e32 v4, v2
	v_lshlrev_b64_e32 v[8:9], 2, v[1:2]
	v_or_b32_e32 v3, 0xd00, v1
	v_or_b32_e32 v5, 0xe00, v1
	;; [unrolled: 1-line block ×4, first 2 shown]
	v_lshl_or_b32 v33, v7, 6, v0
	v_lshlrev_b64_e32 v[12:13], 2, v[3:4]
	v_lshlrev_b64_e32 v[16:17], 2, v[5:6]
	;; [unrolled: 1-line block ×3, first 2 shown]
	s_wait_loadcnt 0xe
	ds_store_2addr_stride64_b32 v10, v11, v14 offset1:1
	s_wait_loadcnt 0xc
	ds_store_2addr_stride64_b32 v10, v15, v20 offset0:2 offset1:3
	s_wait_loadcnt 0xa
	ds_store_2addr_stride64_b32 v10, v21, v22 offset0:4 offset1:5
	;; [unrolled: 2-line block ×7, first 2 shown]
	; wave barrier
	ds_load_b128 v[0:3], v33
	ds_load_b128 v[4:7], v33 offset:16
	v_add_co_u32 v20, vcc_lo, s2, v8
	s_wait_alu 0xfffd
	v_add_co_ci_u32_e64 v21, null, s3, v9, vcc_lo
	ds_load_b128 v[8:11], v33 offset:32
	v_add_co_u32 v22, vcc_lo, s2, v12
	s_wait_alu 0xfffd
	v_add_co_ci_u32_e64 v23, null, s3, v13, vcc_lo
	;; [unrolled: 4-line block ×3, first 2 shown]
	v_add_co_u32 v18, vcc_lo, s2, v18
	s_wait_alu 0xfffd
	v_add_co_ci_u32_e64 v19, null, s3, v19, vcc_lo
	s_wait_dscnt 0x3
	s_clause 0x3
	global_store_b32 v[20:21], v0, off
	global_store_b32 v[20:21], v1, off offset:1024
	global_store_b32 v[20:21], v2, off offset:2048
	global_store_b32 v[20:21], v3, off offset:3072
	s_wait_dscnt 0x2
	s_clause 0x3
	global_store_b32 v[20:21], v4, off offset:4096
	global_store_b32 v[20:21], v5, off offset:5120
	global_store_b32 v[20:21], v6, off offset:6144
	global_store_b32 v[20:21], v7, off offset:7168
	s_wait_dscnt 0x1
	s_clause 0x3
	global_store_b32 v[20:21], v8, off offset:8192
	;; [unrolled: 6-line block ×3, first 2 shown]
	global_store_b32 v[22:23], v13, off
	global_store_b32 v[16:17], v14, off
	;; [unrolled: 1-line block ×3, first 2 shown]
	s_endpgm
	.section	.rodata,"a",@progbits
	.p2align	6, 0x0
	.amdhsa_kernel _Z16warp_load_kernelILj256ELj16ELj64ELN6hipcub17WarpLoadAlgorithmE3EiEvPT3_S3_
		.amdhsa_group_segment_fixed_size 16384
		.amdhsa_private_segment_fixed_size 0
		.amdhsa_kernarg_size 16
		.amdhsa_user_sgpr_count 2
		.amdhsa_user_sgpr_dispatch_ptr 0
		.amdhsa_user_sgpr_queue_ptr 0
		.amdhsa_user_sgpr_kernarg_segment_ptr 1
		.amdhsa_user_sgpr_dispatch_id 0
		.amdhsa_user_sgpr_private_segment_size 0
		.amdhsa_wavefront_size32 1
		.amdhsa_uses_dynamic_stack 0
		.amdhsa_enable_private_segment 0
		.amdhsa_system_sgpr_workgroup_id_x 1
		.amdhsa_system_sgpr_workgroup_id_y 0
		.amdhsa_system_sgpr_workgroup_id_z 0
		.amdhsa_system_sgpr_workgroup_info 0
		.amdhsa_system_vgpr_workitem_id 0
		.amdhsa_next_free_vgpr 34
		.amdhsa_next_free_sgpr 5
		.amdhsa_reserve_vcc 1
		.amdhsa_float_round_mode_32 0
		.amdhsa_float_round_mode_16_64 0
		.amdhsa_float_denorm_mode_32 3
		.amdhsa_float_denorm_mode_16_64 3
		.amdhsa_fp16_overflow 0
		.amdhsa_workgroup_processor_mode 1
		.amdhsa_memory_ordered 1
		.amdhsa_forward_progress 1
		.amdhsa_inst_pref_size 7
		.amdhsa_round_robin_scheduling 0
		.amdhsa_exception_fp_ieee_invalid_op 0
		.amdhsa_exception_fp_denorm_src 0
		.amdhsa_exception_fp_ieee_div_zero 0
		.amdhsa_exception_fp_ieee_overflow 0
		.amdhsa_exception_fp_ieee_underflow 0
		.amdhsa_exception_fp_ieee_inexact 0
		.amdhsa_exception_int_div_zero 0
	.end_amdhsa_kernel
	.section	.text._Z16warp_load_kernelILj256ELj16ELj64ELN6hipcub17WarpLoadAlgorithmE3EiEvPT3_S3_,"axG",@progbits,_Z16warp_load_kernelILj256ELj16ELj64ELN6hipcub17WarpLoadAlgorithmE3EiEvPT3_S3_,comdat
.Lfunc_end48:
	.size	_Z16warp_load_kernelILj256ELj16ELj64ELN6hipcub17WarpLoadAlgorithmE3EiEvPT3_S3_, .Lfunc_end48-_Z16warp_load_kernelILj256ELj16ELj64ELN6hipcub17WarpLoadAlgorithmE3EiEvPT3_S3_
                                        ; -- End function
	.set _Z16warp_load_kernelILj256ELj16ELj64ELN6hipcub17WarpLoadAlgorithmE3EiEvPT3_S3_.num_vgpr, 34
	.set _Z16warp_load_kernelILj256ELj16ELj64ELN6hipcub17WarpLoadAlgorithmE3EiEvPT3_S3_.num_agpr, 0
	.set _Z16warp_load_kernelILj256ELj16ELj64ELN6hipcub17WarpLoadAlgorithmE3EiEvPT3_S3_.numbered_sgpr, 5
	.set _Z16warp_load_kernelILj256ELj16ELj64ELN6hipcub17WarpLoadAlgorithmE3EiEvPT3_S3_.num_named_barrier, 0
	.set _Z16warp_load_kernelILj256ELj16ELj64ELN6hipcub17WarpLoadAlgorithmE3EiEvPT3_S3_.private_seg_size, 0
	.set _Z16warp_load_kernelILj256ELj16ELj64ELN6hipcub17WarpLoadAlgorithmE3EiEvPT3_S3_.uses_vcc, 1
	.set _Z16warp_load_kernelILj256ELj16ELj64ELN6hipcub17WarpLoadAlgorithmE3EiEvPT3_S3_.uses_flat_scratch, 0
	.set _Z16warp_load_kernelILj256ELj16ELj64ELN6hipcub17WarpLoadAlgorithmE3EiEvPT3_S3_.has_dyn_sized_stack, 0
	.set _Z16warp_load_kernelILj256ELj16ELj64ELN6hipcub17WarpLoadAlgorithmE3EiEvPT3_S3_.has_recursion, 0
	.set _Z16warp_load_kernelILj256ELj16ELj64ELN6hipcub17WarpLoadAlgorithmE3EiEvPT3_S3_.has_indirect_call, 0
	.section	.AMDGPU.csdata,"",@progbits
; Kernel info:
; codeLenInByte = 800
; TotalNumSgprs: 7
; NumVgprs: 34
; ScratchSize: 0
; MemoryBound: 1
; FloatMode: 240
; IeeeMode: 1
; LDSByteSize: 16384 bytes/workgroup (compile time only)
; SGPRBlocks: 0
; VGPRBlocks: 4
; NumSGPRsForWavesPerEU: 7
; NumVGPRsForWavesPerEU: 34
; Occupancy: 16
; WaveLimiterHint : 1
; COMPUTE_PGM_RSRC2:SCRATCH_EN: 0
; COMPUTE_PGM_RSRC2:USER_SGPR: 2
; COMPUTE_PGM_RSRC2:TRAP_HANDLER: 0
; COMPUTE_PGM_RSRC2:TGID_X_EN: 1
; COMPUTE_PGM_RSRC2:TGID_Y_EN: 0
; COMPUTE_PGM_RSRC2:TGID_Z_EN: 0
; COMPUTE_PGM_RSRC2:TIDIG_COMP_CNT: 0
	.section	.text._Z16warp_load_kernelILj256ELj32ELj64ELN6hipcub17WarpLoadAlgorithmE0EiEvPT3_S3_,"axG",@progbits,_Z16warp_load_kernelILj256ELj32ELj64ELN6hipcub17WarpLoadAlgorithmE0EiEvPT3_S3_,comdat
	.protected	_Z16warp_load_kernelILj256ELj32ELj64ELN6hipcub17WarpLoadAlgorithmE0EiEvPT3_S3_ ; -- Begin function _Z16warp_load_kernelILj256ELj32ELj64ELN6hipcub17WarpLoadAlgorithmE0EiEvPT3_S3_
	.globl	_Z16warp_load_kernelILj256ELj32ELj64ELN6hipcub17WarpLoadAlgorithmE0EiEvPT3_S3_
	.p2align	8
	.type	_Z16warp_load_kernelILj256ELj32ELj64ELN6hipcub17WarpLoadAlgorithmE0EiEvPT3_S3_,@function
_Z16warp_load_kernelILj256ELj32ELj64ELN6hipcub17WarpLoadAlgorithmE0EiEvPT3_S3_: ; @_Z16warp_load_kernelILj256ELj32ELj64ELN6hipcub17WarpLoadAlgorithmE0EiEvPT3_S3_
; %bb.0:
	s_load_b128 s[0:3], s[0:1], 0x0
	v_dual_mov_b32 v34, 0 :: v_dual_lshlrev_b32 v1, 5, v0
	s_lshl_b32 s4, ttmp9, 13
	v_mbcnt_lo_u32_b32 v3, -1, 0
	s_delay_alu instid0(VALU_DEP_2) | instskip(NEXT) | instid1(VALU_DEP_3)
	v_and_or_b32 v33, 0x1800, v1, s4
	v_mov_b32_e32 v36, v34
	s_delay_alu instid0(VALU_DEP_3) | instskip(NEXT) | instid1(VALU_DEP_3)
	v_dual_mov_b32 v38, v34 :: v_dual_lshlrev_b32 v3, 7, v3
	v_lshlrev_b64_e32 v[1:2], 2, v[33:34]
	v_or_b32_e32 v33, s4, v0
	s_delay_alu instid0(VALU_DEP_1) | instskip(SKIP_4) | instid1(VALU_DEP_1)
	v_or_b32_e32 v35, 0x1d00, v33
	v_or_b32_e32 v37, 0x1e00, v33
	v_lshlrev_b64_e32 v[39:40], 2, v[33:34]
	s_wait_kmcnt 0x0
	v_add_co_u32 v1, vcc_lo, s0, v1
	v_add_co_ci_u32_e64 v2, null, s1, v2, vcc_lo
	v_or_b32_e32 v33, 0x1f00, v33
	s_delay_alu instid0(VALU_DEP_3) | instskip(SKIP_1) | instid1(VALU_DEP_3)
	v_add_co_u32 v29, vcc_lo, v1, v3
	s_wait_alu 0xfffd
	v_add_co_ci_u32_e64 v30, null, 0, v2, vcc_lo
	v_lshlrev_b64_e32 v[35:36], 2, v[35:36]
	v_lshlrev_b64_e32 v[37:38], 2, v[37:38]
	;; [unrolled: 1-line block ×3, first 2 shown]
	s_clause 0x7
	global_load_b128 v[1:4], v[29:30], off
	global_load_b128 v[5:8], v[29:30], off offset:16
	global_load_b128 v[9:12], v[29:30], off offset:32
	;; [unrolled: 1-line block ×7, first 2 shown]
	v_add_co_u32 v39, vcc_lo, s2, v39
	s_wait_alu 0xfffd
	v_add_co_ci_u32_e64 v40, null, s3, v40, vcc_lo
	v_add_co_u32 v35, vcc_lo, s2, v35
	s_wait_alu 0xfffd
	v_add_co_ci_u32_e64 v36, null, s3, v36, vcc_lo
	;; [unrolled: 3-line block ×4, first 2 shown]
	s_wait_loadcnt 0x7
	s_clause 0x3
	global_store_b32 v[39:40], v1, off
	global_store_b32 v[39:40], v2, off offset:1024
	global_store_b32 v[39:40], v3, off offset:2048
	global_store_b32 v[39:40], v4, off offset:3072
	s_wait_loadcnt 0x6
	s_clause 0x3
	global_store_b32 v[39:40], v5, off offset:4096
	global_store_b32 v[39:40], v6, off offset:5120
	global_store_b32 v[39:40], v7, off offset:6144
	global_store_b32 v[39:40], v8, off offset:7168
	s_wait_loadcnt 0x5
	s_clause 0x3
	global_store_b32 v[39:40], v9, off offset:8192
	;; [unrolled: 6-line block ×7, first 2 shown]
	global_store_b32 v[35:36], v30, off
	global_store_b32 v[37:38], v31, off
	;; [unrolled: 1-line block ×3, first 2 shown]
	s_endpgm
	.section	.rodata,"a",@progbits
	.p2align	6, 0x0
	.amdhsa_kernel _Z16warp_load_kernelILj256ELj32ELj64ELN6hipcub17WarpLoadAlgorithmE0EiEvPT3_S3_
		.amdhsa_group_segment_fixed_size 0
		.amdhsa_private_segment_fixed_size 0
		.amdhsa_kernarg_size 16
		.amdhsa_user_sgpr_count 2
		.amdhsa_user_sgpr_dispatch_ptr 0
		.amdhsa_user_sgpr_queue_ptr 0
		.amdhsa_user_sgpr_kernarg_segment_ptr 1
		.amdhsa_user_sgpr_dispatch_id 0
		.amdhsa_user_sgpr_private_segment_size 0
		.amdhsa_wavefront_size32 1
		.amdhsa_uses_dynamic_stack 0
		.amdhsa_enable_private_segment 0
		.amdhsa_system_sgpr_workgroup_id_x 1
		.amdhsa_system_sgpr_workgroup_id_y 0
		.amdhsa_system_sgpr_workgroup_id_z 0
		.amdhsa_system_sgpr_workgroup_info 0
		.amdhsa_system_vgpr_workitem_id 0
		.amdhsa_next_free_vgpr 41
		.amdhsa_next_free_sgpr 5
		.amdhsa_reserve_vcc 1
		.amdhsa_float_round_mode_32 0
		.amdhsa_float_round_mode_16_64 0
		.amdhsa_float_denorm_mode_32 3
		.amdhsa_float_denorm_mode_16_64 3
		.amdhsa_fp16_overflow 0
		.amdhsa_workgroup_processor_mode 1
		.amdhsa_memory_ordered 1
		.amdhsa_forward_progress 1
		.amdhsa_inst_pref_size 7
		.amdhsa_round_robin_scheduling 0
		.amdhsa_exception_fp_ieee_invalid_op 0
		.amdhsa_exception_fp_denorm_src 0
		.amdhsa_exception_fp_ieee_div_zero 0
		.amdhsa_exception_fp_ieee_overflow 0
		.amdhsa_exception_fp_ieee_underflow 0
		.amdhsa_exception_fp_ieee_inexact 0
		.amdhsa_exception_int_div_zero 0
	.end_amdhsa_kernel
	.section	.text._Z16warp_load_kernelILj256ELj32ELj64ELN6hipcub17WarpLoadAlgorithmE0EiEvPT3_S3_,"axG",@progbits,_Z16warp_load_kernelILj256ELj32ELj64ELN6hipcub17WarpLoadAlgorithmE0EiEvPT3_S3_,comdat
.Lfunc_end49:
	.size	_Z16warp_load_kernelILj256ELj32ELj64ELN6hipcub17WarpLoadAlgorithmE0EiEvPT3_S3_, .Lfunc_end49-_Z16warp_load_kernelILj256ELj32ELj64ELN6hipcub17WarpLoadAlgorithmE0EiEvPT3_S3_
                                        ; -- End function
	.set _Z16warp_load_kernelILj256ELj32ELj64ELN6hipcub17WarpLoadAlgorithmE0EiEvPT3_S3_.num_vgpr, 41
	.set _Z16warp_load_kernelILj256ELj32ELj64ELN6hipcub17WarpLoadAlgorithmE0EiEvPT3_S3_.num_agpr, 0
	.set _Z16warp_load_kernelILj256ELj32ELj64ELN6hipcub17WarpLoadAlgorithmE0EiEvPT3_S3_.numbered_sgpr, 5
	.set _Z16warp_load_kernelILj256ELj32ELj64ELN6hipcub17WarpLoadAlgorithmE0EiEvPT3_S3_.num_named_barrier, 0
	.set _Z16warp_load_kernelILj256ELj32ELj64ELN6hipcub17WarpLoadAlgorithmE0EiEvPT3_S3_.private_seg_size, 0
	.set _Z16warp_load_kernelILj256ELj32ELj64ELN6hipcub17WarpLoadAlgorithmE0EiEvPT3_S3_.uses_vcc, 1
	.set _Z16warp_load_kernelILj256ELj32ELj64ELN6hipcub17WarpLoadAlgorithmE0EiEvPT3_S3_.uses_flat_scratch, 0
	.set _Z16warp_load_kernelILj256ELj32ELj64ELN6hipcub17WarpLoadAlgorithmE0EiEvPT3_S3_.has_dyn_sized_stack, 0
	.set _Z16warp_load_kernelILj256ELj32ELj64ELN6hipcub17WarpLoadAlgorithmE0EiEvPT3_S3_.has_recursion, 0
	.set _Z16warp_load_kernelILj256ELj32ELj64ELN6hipcub17WarpLoadAlgorithmE0EiEvPT3_S3_.has_indirect_call, 0
	.section	.AMDGPU.csdata,"",@progbits
; Kernel info:
; codeLenInByte = 788
; TotalNumSgprs: 7
; NumVgprs: 41
; ScratchSize: 0
; MemoryBound: 1
; FloatMode: 240
; IeeeMode: 1
; LDSByteSize: 0 bytes/workgroup (compile time only)
; SGPRBlocks: 0
; VGPRBlocks: 5
; NumSGPRsForWavesPerEU: 7
; NumVGPRsForWavesPerEU: 41
; Occupancy: 16
; WaveLimiterHint : 1
; COMPUTE_PGM_RSRC2:SCRATCH_EN: 0
; COMPUTE_PGM_RSRC2:USER_SGPR: 2
; COMPUTE_PGM_RSRC2:TRAP_HANDLER: 0
; COMPUTE_PGM_RSRC2:TGID_X_EN: 1
; COMPUTE_PGM_RSRC2:TGID_Y_EN: 0
; COMPUTE_PGM_RSRC2:TGID_Z_EN: 0
; COMPUTE_PGM_RSRC2:TIDIG_COMP_CNT: 0
	.section	.text._Z16warp_load_kernelILj256ELj32ELj64ELN6hipcub17WarpLoadAlgorithmE1EiEvPT3_S3_,"axG",@progbits,_Z16warp_load_kernelILj256ELj32ELj64ELN6hipcub17WarpLoadAlgorithmE1EiEvPT3_S3_,comdat
	.protected	_Z16warp_load_kernelILj256ELj32ELj64ELN6hipcub17WarpLoadAlgorithmE1EiEvPT3_S3_ ; -- Begin function _Z16warp_load_kernelILj256ELj32ELj64ELN6hipcub17WarpLoadAlgorithmE1EiEvPT3_S3_
	.globl	_Z16warp_load_kernelILj256ELj32ELj64ELN6hipcub17WarpLoadAlgorithmE1EiEvPT3_S3_
	.p2align	8
	.type	_Z16warp_load_kernelILj256ELj32ELj64ELN6hipcub17WarpLoadAlgorithmE1EiEvPT3_S3_,@function
_Z16warp_load_kernelILj256ELj32ELj64ELN6hipcub17WarpLoadAlgorithmE1EiEvPT3_S3_: ; @_Z16warp_load_kernelILj256ELj32ELj64ELN6hipcub17WarpLoadAlgorithmE1EiEvPT3_S3_
; %bb.0:
	s_load_b128 s[0:3], s[0:1], 0x0
	v_dual_mov_b32 v2, 0 :: v_dual_lshlrev_b32 v1, 5, v0
	s_lshl_b32 s4, ttmp9, 13
	v_mbcnt_lo_u32_b32 v5, -1, 0
	s_delay_alu instid0(VALU_DEP_2) | instskip(NEXT) | instid1(VALU_DEP_3)
	v_and_or_b32 v1, 0x1800, v1, s4
	v_mov_b32_e32 v6, v2
	s_delay_alu instid0(VALU_DEP_2) | instskip(NEXT) | instid1(VALU_DEP_4)
	v_lshlrev_b64_e32 v[3:4], 2, v[1:2]
	v_lshlrev_b32_e32 v1, 2, v5
	s_wait_kmcnt 0x0
	s_delay_alu instid0(VALU_DEP_2) | instskip(NEXT) | instid1(VALU_DEP_1)
	v_add_co_u32 v3, vcc_lo, s0, v3
	v_add_co_ci_u32_e64 v4, null, s1, v4, vcc_lo
	s_delay_alu instid0(VALU_DEP_2) | instskip(SKIP_1) | instid1(VALU_DEP_2)
	v_add_co_u32 v3, vcc_lo, v3, v1
	s_wait_alu 0xfffd
	v_add_co_ci_u32_e64 v4, null, 0, v4, vcc_lo
	v_or_b32_e32 v1, s4, v0
	s_clause 0x1f
	global_load_b32 v9, v[3:4], off
	global_load_b32 v10, v[3:4], off offset:256
	global_load_b32 v11, v[3:4], off offset:512
	;; [unrolled: 1-line block ×31, first 2 shown]
	v_mov_b32_e32 v4, v2
	v_or_b32_e32 v3, 0x1d00, v1
	v_or_b32_e32 v5, 0x1e00, v1
	v_lshlrev_b64_e32 v[7:8], 2, v[1:2]
	v_or_b32_e32 v1, 0x1f00, v1
	s_delay_alu instid0(VALU_DEP_4) | instskip(NEXT) | instid1(VALU_DEP_4)
	v_lshlrev_b64_e32 v[3:4], 2, v[3:4]
	v_lshlrev_b64_e32 v[5:6], 2, v[5:6]
	s_delay_alu instid0(VALU_DEP_3)
	v_lshlrev_b64_e32 v[0:1], 2, v[1:2]
	v_add_co_u32 v7, vcc_lo, s2, v7
	s_wait_alu 0xfffd
	v_add_co_ci_u32_e64 v8, null, s3, v8, vcc_lo
	v_add_co_u32 v2, vcc_lo, s2, v3
	s_wait_alu 0xfffd
	v_add_co_ci_u32_e64 v3, null, s3, v4, vcc_lo
	;; [unrolled: 3-line block ×4, first 2 shown]
	s_wait_loadcnt 0x1f
	global_store_b32 v[7:8], v9, off
	s_wait_loadcnt 0x1e
	global_store_b32 v[7:8], v10, off offset:1024
	s_wait_loadcnt 0x1d
	global_store_b32 v[7:8], v11, off offset:2048
	;; [unrolled: 2-line block ×28, first 2 shown]
	s_wait_loadcnt 0x2
	global_store_b32 v[2:3], v38, off
	s_wait_loadcnt 0x1
	global_store_b32 v[4:5], v39, off
	;; [unrolled: 2-line block ×3, first 2 shown]
	s_endpgm
	.section	.rodata,"a",@progbits
	.p2align	6, 0x0
	.amdhsa_kernel _Z16warp_load_kernelILj256ELj32ELj64ELN6hipcub17WarpLoadAlgorithmE1EiEvPT3_S3_
		.amdhsa_group_segment_fixed_size 0
		.amdhsa_private_segment_fixed_size 0
		.amdhsa_kernarg_size 16
		.amdhsa_user_sgpr_count 2
		.amdhsa_user_sgpr_dispatch_ptr 0
		.amdhsa_user_sgpr_queue_ptr 0
		.amdhsa_user_sgpr_kernarg_segment_ptr 1
		.amdhsa_user_sgpr_dispatch_id 0
		.amdhsa_user_sgpr_private_segment_size 0
		.amdhsa_wavefront_size32 1
		.amdhsa_uses_dynamic_stack 0
		.amdhsa_enable_private_segment 0
		.amdhsa_system_sgpr_workgroup_id_x 1
		.amdhsa_system_sgpr_workgroup_id_y 0
		.amdhsa_system_sgpr_workgroup_id_z 0
		.amdhsa_system_sgpr_workgroup_info 0
		.amdhsa_system_vgpr_workitem_id 0
		.amdhsa_next_free_vgpr 41
		.amdhsa_next_free_sgpr 5
		.amdhsa_reserve_vcc 1
		.amdhsa_float_round_mode_32 0
		.amdhsa_float_round_mode_16_64 0
		.amdhsa_float_denorm_mode_32 3
		.amdhsa_float_denorm_mode_16_64 3
		.amdhsa_fp16_overflow 0
		.amdhsa_workgroup_processor_mode 1
		.amdhsa_memory_ordered 1
		.amdhsa_forward_progress 1
		.amdhsa_inst_pref_size 9
		.amdhsa_round_robin_scheduling 0
		.amdhsa_exception_fp_ieee_invalid_op 0
		.amdhsa_exception_fp_denorm_src 0
		.amdhsa_exception_fp_ieee_div_zero 0
		.amdhsa_exception_fp_ieee_overflow 0
		.amdhsa_exception_fp_ieee_underflow 0
		.amdhsa_exception_fp_ieee_inexact 0
		.amdhsa_exception_int_div_zero 0
	.end_amdhsa_kernel
	.section	.text._Z16warp_load_kernelILj256ELj32ELj64ELN6hipcub17WarpLoadAlgorithmE1EiEvPT3_S3_,"axG",@progbits,_Z16warp_load_kernelILj256ELj32ELj64ELN6hipcub17WarpLoadAlgorithmE1EiEvPT3_S3_,comdat
.Lfunc_end50:
	.size	_Z16warp_load_kernelILj256ELj32ELj64ELN6hipcub17WarpLoadAlgorithmE1EiEvPT3_S3_, .Lfunc_end50-_Z16warp_load_kernelILj256ELj32ELj64ELN6hipcub17WarpLoadAlgorithmE1EiEvPT3_S3_
                                        ; -- End function
	.set _Z16warp_load_kernelILj256ELj32ELj64ELN6hipcub17WarpLoadAlgorithmE1EiEvPT3_S3_.num_vgpr, 41
	.set _Z16warp_load_kernelILj256ELj32ELj64ELN6hipcub17WarpLoadAlgorithmE1EiEvPT3_S3_.num_agpr, 0
	.set _Z16warp_load_kernelILj256ELj32ELj64ELN6hipcub17WarpLoadAlgorithmE1EiEvPT3_S3_.numbered_sgpr, 5
	.set _Z16warp_load_kernelILj256ELj32ELj64ELN6hipcub17WarpLoadAlgorithmE1EiEvPT3_S3_.num_named_barrier, 0
	.set _Z16warp_load_kernelILj256ELj32ELj64ELN6hipcub17WarpLoadAlgorithmE1EiEvPT3_S3_.private_seg_size, 0
	.set _Z16warp_load_kernelILj256ELj32ELj64ELN6hipcub17WarpLoadAlgorithmE1EiEvPT3_S3_.uses_vcc, 1
	.set _Z16warp_load_kernelILj256ELj32ELj64ELN6hipcub17WarpLoadAlgorithmE1EiEvPT3_S3_.uses_flat_scratch, 0
	.set _Z16warp_load_kernelILj256ELj32ELj64ELN6hipcub17WarpLoadAlgorithmE1EiEvPT3_S3_.has_dyn_sized_stack, 0
	.set _Z16warp_load_kernelILj256ELj32ELj64ELN6hipcub17WarpLoadAlgorithmE1EiEvPT3_S3_.has_recursion, 0
	.set _Z16warp_load_kernelILj256ELj32ELj64ELN6hipcub17WarpLoadAlgorithmE1EiEvPT3_S3_.has_indirect_call, 0
	.section	.AMDGPU.csdata,"",@progbits
; Kernel info:
; codeLenInByte = 1148
; TotalNumSgprs: 7
; NumVgprs: 41
; ScratchSize: 0
; MemoryBound: 1
; FloatMode: 240
; IeeeMode: 1
; LDSByteSize: 0 bytes/workgroup (compile time only)
; SGPRBlocks: 0
; VGPRBlocks: 5
; NumSGPRsForWavesPerEU: 7
; NumVGPRsForWavesPerEU: 41
; Occupancy: 16
; WaveLimiterHint : 1
; COMPUTE_PGM_RSRC2:SCRATCH_EN: 0
; COMPUTE_PGM_RSRC2:USER_SGPR: 2
; COMPUTE_PGM_RSRC2:TRAP_HANDLER: 0
; COMPUTE_PGM_RSRC2:TGID_X_EN: 1
; COMPUTE_PGM_RSRC2:TGID_Y_EN: 0
; COMPUTE_PGM_RSRC2:TGID_Z_EN: 0
; COMPUTE_PGM_RSRC2:TIDIG_COMP_CNT: 0
	.section	.text._Z16warp_load_kernelILj256ELj32ELj64ELN6hipcub17WarpLoadAlgorithmE2EiEvPT3_S3_,"axG",@progbits,_Z16warp_load_kernelILj256ELj32ELj64ELN6hipcub17WarpLoadAlgorithmE2EiEvPT3_S3_,comdat
	.protected	_Z16warp_load_kernelILj256ELj32ELj64ELN6hipcub17WarpLoadAlgorithmE2EiEvPT3_S3_ ; -- Begin function _Z16warp_load_kernelILj256ELj32ELj64ELN6hipcub17WarpLoadAlgorithmE2EiEvPT3_S3_
	.globl	_Z16warp_load_kernelILj256ELj32ELj64ELN6hipcub17WarpLoadAlgorithmE2EiEvPT3_S3_
	.p2align	8
	.type	_Z16warp_load_kernelILj256ELj32ELj64ELN6hipcub17WarpLoadAlgorithmE2EiEvPT3_S3_,@function
_Z16warp_load_kernelILj256ELj32ELj64ELN6hipcub17WarpLoadAlgorithmE2EiEvPT3_S3_: ; @_Z16warp_load_kernelILj256ELj32ELj64ELN6hipcub17WarpLoadAlgorithmE2EiEvPT3_S3_
; %bb.0:
	s_load_b128 s[0:3], s[0:1], 0x0
	v_dual_mov_b32 v34, 0 :: v_dual_lshlrev_b32 v1, 5, v0
	s_lshl_b32 s4, ttmp9, 13
	v_mbcnt_lo_u32_b32 v3, -1, 0
	s_delay_alu instid0(VALU_DEP_2) | instskip(NEXT) | instid1(VALU_DEP_3)
	v_and_or_b32 v33, 0x1800, v1, s4
	v_mov_b32_e32 v36, v34
	s_delay_alu instid0(VALU_DEP_3) | instskip(NEXT) | instid1(VALU_DEP_3)
	v_dual_mov_b32 v38, v34 :: v_dual_lshlrev_b32 v3, 7, v3
	v_lshlrev_b64_e32 v[1:2], 2, v[33:34]
	v_or_b32_e32 v33, s4, v0
	s_delay_alu instid0(VALU_DEP_1) | instskip(SKIP_4) | instid1(VALU_DEP_1)
	v_or_b32_e32 v35, 0x1d00, v33
	v_or_b32_e32 v37, 0x1e00, v33
	v_lshlrev_b64_e32 v[39:40], 2, v[33:34]
	s_wait_kmcnt 0x0
	v_add_co_u32 v1, vcc_lo, s0, v1
	v_add_co_ci_u32_e64 v2, null, s1, v2, vcc_lo
	v_or_b32_e32 v33, 0x1f00, v33
	s_delay_alu instid0(VALU_DEP_3) | instskip(SKIP_1) | instid1(VALU_DEP_3)
	v_add_co_u32 v29, vcc_lo, v1, v3
	s_wait_alu 0xfffd
	v_add_co_ci_u32_e64 v30, null, 0, v2, vcc_lo
	v_lshlrev_b64_e32 v[35:36], 2, v[35:36]
	v_lshlrev_b64_e32 v[37:38], 2, v[37:38]
	;; [unrolled: 1-line block ×3, first 2 shown]
	s_clause 0x7
	global_load_b128 v[1:4], v[29:30], off
	global_load_b128 v[5:8], v[29:30], off offset:16
	global_load_b128 v[9:12], v[29:30], off offset:32
	;; [unrolled: 1-line block ×7, first 2 shown]
	v_add_co_u32 v39, vcc_lo, s2, v39
	s_wait_alu 0xfffd
	v_add_co_ci_u32_e64 v40, null, s3, v40, vcc_lo
	v_add_co_u32 v35, vcc_lo, s2, v35
	s_wait_alu 0xfffd
	v_add_co_ci_u32_e64 v36, null, s3, v36, vcc_lo
	;; [unrolled: 3-line block ×4, first 2 shown]
	s_wait_loadcnt 0x7
	s_clause 0x3
	global_store_b32 v[39:40], v1, off
	global_store_b32 v[39:40], v2, off offset:1024
	global_store_b32 v[39:40], v3, off offset:2048
	global_store_b32 v[39:40], v4, off offset:3072
	s_wait_loadcnt 0x6
	s_clause 0x3
	global_store_b32 v[39:40], v5, off offset:4096
	global_store_b32 v[39:40], v6, off offset:5120
	global_store_b32 v[39:40], v7, off offset:6144
	global_store_b32 v[39:40], v8, off offset:7168
	s_wait_loadcnt 0x5
	s_clause 0x3
	global_store_b32 v[39:40], v9, off offset:8192
	;; [unrolled: 6-line block ×7, first 2 shown]
	global_store_b32 v[35:36], v30, off
	global_store_b32 v[37:38], v31, off
	;; [unrolled: 1-line block ×3, first 2 shown]
	s_endpgm
	.section	.rodata,"a",@progbits
	.p2align	6, 0x0
	.amdhsa_kernel _Z16warp_load_kernelILj256ELj32ELj64ELN6hipcub17WarpLoadAlgorithmE2EiEvPT3_S3_
		.amdhsa_group_segment_fixed_size 0
		.amdhsa_private_segment_fixed_size 0
		.amdhsa_kernarg_size 16
		.amdhsa_user_sgpr_count 2
		.amdhsa_user_sgpr_dispatch_ptr 0
		.amdhsa_user_sgpr_queue_ptr 0
		.amdhsa_user_sgpr_kernarg_segment_ptr 1
		.amdhsa_user_sgpr_dispatch_id 0
		.amdhsa_user_sgpr_private_segment_size 0
		.amdhsa_wavefront_size32 1
		.amdhsa_uses_dynamic_stack 0
		.amdhsa_enable_private_segment 0
		.amdhsa_system_sgpr_workgroup_id_x 1
		.amdhsa_system_sgpr_workgroup_id_y 0
		.amdhsa_system_sgpr_workgroup_id_z 0
		.amdhsa_system_sgpr_workgroup_info 0
		.amdhsa_system_vgpr_workitem_id 0
		.amdhsa_next_free_vgpr 41
		.amdhsa_next_free_sgpr 5
		.amdhsa_reserve_vcc 1
		.amdhsa_float_round_mode_32 0
		.amdhsa_float_round_mode_16_64 0
		.amdhsa_float_denorm_mode_32 3
		.amdhsa_float_denorm_mode_16_64 3
		.amdhsa_fp16_overflow 0
		.amdhsa_workgroup_processor_mode 1
		.amdhsa_memory_ordered 1
		.amdhsa_forward_progress 1
		.amdhsa_inst_pref_size 7
		.amdhsa_round_robin_scheduling 0
		.amdhsa_exception_fp_ieee_invalid_op 0
		.amdhsa_exception_fp_denorm_src 0
		.amdhsa_exception_fp_ieee_div_zero 0
		.amdhsa_exception_fp_ieee_overflow 0
		.amdhsa_exception_fp_ieee_underflow 0
		.amdhsa_exception_fp_ieee_inexact 0
		.amdhsa_exception_int_div_zero 0
	.end_amdhsa_kernel
	.section	.text._Z16warp_load_kernelILj256ELj32ELj64ELN6hipcub17WarpLoadAlgorithmE2EiEvPT3_S3_,"axG",@progbits,_Z16warp_load_kernelILj256ELj32ELj64ELN6hipcub17WarpLoadAlgorithmE2EiEvPT3_S3_,comdat
.Lfunc_end51:
	.size	_Z16warp_load_kernelILj256ELj32ELj64ELN6hipcub17WarpLoadAlgorithmE2EiEvPT3_S3_, .Lfunc_end51-_Z16warp_load_kernelILj256ELj32ELj64ELN6hipcub17WarpLoadAlgorithmE2EiEvPT3_S3_
                                        ; -- End function
	.set _Z16warp_load_kernelILj256ELj32ELj64ELN6hipcub17WarpLoadAlgorithmE2EiEvPT3_S3_.num_vgpr, 41
	.set _Z16warp_load_kernelILj256ELj32ELj64ELN6hipcub17WarpLoadAlgorithmE2EiEvPT3_S3_.num_agpr, 0
	.set _Z16warp_load_kernelILj256ELj32ELj64ELN6hipcub17WarpLoadAlgorithmE2EiEvPT3_S3_.numbered_sgpr, 5
	.set _Z16warp_load_kernelILj256ELj32ELj64ELN6hipcub17WarpLoadAlgorithmE2EiEvPT3_S3_.num_named_barrier, 0
	.set _Z16warp_load_kernelILj256ELj32ELj64ELN6hipcub17WarpLoadAlgorithmE2EiEvPT3_S3_.private_seg_size, 0
	.set _Z16warp_load_kernelILj256ELj32ELj64ELN6hipcub17WarpLoadAlgorithmE2EiEvPT3_S3_.uses_vcc, 1
	.set _Z16warp_load_kernelILj256ELj32ELj64ELN6hipcub17WarpLoadAlgorithmE2EiEvPT3_S3_.uses_flat_scratch, 0
	.set _Z16warp_load_kernelILj256ELj32ELj64ELN6hipcub17WarpLoadAlgorithmE2EiEvPT3_S3_.has_dyn_sized_stack, 0
	.set _Z16warp_load_kernelILj256ELj32ELj64ELN6hipcub17WarpLoadAlgorithmE2EiEvPT3_S3_.has_recursion, 0
	.set _Z16warp_load_kernelILj256ELj32ELj64ELN6hipcub17WarpLoadAlgorithmE2EiEvPT3_S3_.has_indirect_call, 0
	.section	.AMDGPU.csdata,"",@progbits
; Kernel info:
; codeLenInByte = 788
; TotalNumSgprs: 7
; NumVgprs: 41
; ScratchSize: 0
; MemoryBound: 1
; FloatMode: 240
; IeeeMode: 1
; LDSByteSize: 0 bytes/workgroup (compile time only)
; SGPRBlocks: 0
; VGPRBlocks: 5
; NumSGPRsForWavesPerEU: 7
; NumVGPRsForWavesPerEU: 41
; Occupancy: 16
; WaveLimiterHint : 1
; COMPUTE_PGM_RSRC2:SCRATCH_EN: 0
; COMPUTE_PGM_RSRC2:USER_SGPR: 2
; COMPUTE_PGM_RSRC2:TRAP_HANDLER: 0
; COMPUTE_PGM_RSRC2:TGID_X_EN: 1
; COMPUTE_PGM_RSRC2:TGID_Y_EN: 0
; COMPUTE_PGM_RSRC2:TGID_Z_EN: 0
; COMPUTE_PGM_RSRC2:TIDIG_COMP_CNT: 0
	.section	.text._Z16warp_load_kernelILj256ELj32ELj64ELN6hipcub17WarpLoadAlgorithmE3EiEvPT3_S3_,"axG",@progbits,_Z16warp_load_kernelILj256ELj32ELj64ELN6hipcub17WarpLoadAlgorithmE3EiEvPT3_S3_,comdat
	.protected	_Z16warp_load_kernelILj256ELj32ELj64ELN6hipcub17WarpLoadAlgorithmE3EiEvPT3_S3_ ; -- Begin function _Z16warp_load_kernelILj256ELj32ELj64ELN6hipcub17WarpLoadAlgorithmE3EiEvPT3_S3_
	.globl	_Z16warp_load_kernelILj256ELj32ELj64ELN6hipcub17WarpLoadAlgorithmE3EiEvPT3_S3_
	.p2align	8
	.type	_Z16warp_load_kernelILj256ELj32ELj64ELN6hipcub17WarpLoadAlgorithmE3EiEvPT3_S3_,@function
_Z16warp_load_kernelILj256ELj32ELj64ELN6hipcub17WarpLoadAlgorithmE3EiEvPT3_S3_: ; @_Z16warp_load_kernelILj256ELj32ELj64ELN6hipcub17WarpLoadAlgorithmE3EiEvPT3_S3_
; %bb.0:
	s_load_b128 s[0:3], s[0:1], 0x0
	v_lshrrev_b32_e32 v5, 6, v0
	s_lshl_b32 s4, ttmp9, 13
	v_mov_b32_e32 v2, 0
	v_mbcnt_lo_u32_b32 v9, -1, 0
	s_delay_alu instid0(VALU_DEP_3) | instskip(NEXT) | instid1(VALU_DEP_3)
	v_lshl_or_b32 v1, v5, 11, s4
	v_mov_b32_e32 v6, v2
	s_delay_alu instid0(VALU_DEP_3) | instskip(NEXT) | instid1(VALU_DEP_3)
	v_lshlrev_b32_e32 v10, 2, v9
	v_lshlrev_b64_e32 v[3:4], 2, v[1:2]
	s_wait_kmcnt 0x0
	s_delay_alu instid0(VALU_DEP_1) | instskip(NEXT) | instid1(VALU_DEP_1)
	v_add_co_u32 v1, vcc_lo, s0, v3
	v_add_co_ci_u32_e64 v4, null, s1, v4, vcc_lo
	s_delay_alu instid0(VALU_DEP_2) | instskip(SKIP_1) | instid1(VALU_DEP_2)
	v_add_co_u32 v3, vcc_lo, v1, v10
	s_wait_alu 0xfffd
	v_add_co_ci_u32_e64 v4, null, 0, v4, vcc_lo
	v_or_b32_e32 v1, s4, v0
	v_lshlrev_b32_e32 v0, 13, v5
	s_clause 0x1f
	global_load_b32 v11, v[3:4], off
	global_load_b32 v14, v[3:4], off offset:256
	global_load_b32 v15, v[3:4], off offset:512
	;; [unrolled: 1-line block ×31, first 2 shown]
	v_mov_b32_e32 v4, v2
	v_or_b32_e32 v3, 0x1d00, v1
	v_or_b32_e32 v5, 0x1e00, v1
	v_lshlrev_b64_e32 v[7:8], 2, v[1:2]
	v_or_b32_e32 v1, 0x1f00, v1
	v_or_b32_e32 v49, v0, v10
	v_lshl_or_b32 v50, v9, 7, v0
	v_lshlrev_b64_e32 v[9:10], 2, v[3:4]
	v_lshlrev_b64_e32 v[12:13], 2, v[5:6]
	;; [unrolled: 1-line block ×3, first 2 shown]
	v_add_co_u32 v32, vcc_lo, s2, v7
	s_wait_alu 0xfffd
	v_add_co_ci_u32_e64 v33, null, s3, v8, vcc_lo
	s_wait_loadcnt 0x1e
	ds_store_2addr_stride64_b32 v49, v11, v14 offset1:1
	s_wait_loadcnt 0x1c
	ds_store_2addr_stride64_b32 v49, v15, v18 offset0:2 offset1:3
	s_wait_loadcnt 0x1a
	ds_store_2addr_stride64_b32 v49, v19, v20 offset0:4 offset1:5
	;; [unrolled: 2-line block ×15, first 2 shown]
	v_add_co_u32 v34, vcc_lo, s2, v9
	s_wait_alu 0xfffd
	v_add_co_ci_u32_e64 v35, null, s3, v10, vcc_lo
	v_add_co_u32 v36, vcc_lo, s2, v12
	s_wait_alu 0xfffd
	v_add_co_ci_u32_e64 v37, null, s3, v13, vcc_lo
	v_add_co_u32 v38, vcc_lo, s2, v16
	; wave barrier
	ds_load_b128 v[0:3], v50
	ds_load_b128 v[4:7], v50 offset:16
	ds_load_b128 v[8:11], v50 offset:32
	;; [unrolled: 1-line block ×3, first 2 shown]
	s_wait_alu 0xfffd
	v_add_co_ci_u32_e64 v39, null, s3, v17, vcc_lo
	ds_load_b128 v[16:19], v50 offset:64
	ds_load_b128 v[20:23], v50 offset:80
	;; [unrolled: 1-line block ×4, first 2 shown]
	s_wait_dscnt 0x7
	s_clause 0x3
	global_store_b32 v[32:33], v0, off
	global_store_b32 v[32:33], v1, off offset:1024
	global_store_b32 v[32:33], v2, off offset:2048
	global_store_b32 v[32:33], v3, off offset:3072
	s_wait_dscnt 0x6
	s_clause 0x3
	global_store_b32 v[32:33], v4, off offset:4096
	global_store_b32 v[32:33], v5, off offset:5120
	global_store_b32 v[32:33], v6, off offset:6144
	global_store_b32 v[32:33], v7, off offset:7168
	s_wait_dscnt 0x5
	s_clause 0x3
	global_store_b32 v[32:33], v8, off offset:8192
	;; [unrolled: 6-line block ×7, first 2 shown]
	global_store_b32 v[34:35], v29, off
	global_store_b32 v[36:37], v30, off
	;; [unrolled: 1-line block ×3, first 2 shown]
	s_endpgm
	.section	.rodata,"a",@progbits
	.p2align	6, 0x0
	.amdhsa_kernel _Z16warp_load_kernelILj256ELj32ELj64ELN6hipcub17WarpLoadAlgorithmE3EiEvPT3_S3_
		.amdhsa_group_segment_fixed_size 32768
		.amdhsa_private_segment_fixed_size 0
		.amdhsa_kernarg_size 16
		.amdhsa_user_sgpr_count 2
		.amdhsa_user_sgpr_dispatch_ptr 0
		.amdhsa_user_sgpr_queue_ptr 0
		.amdhsa_user_sgpr_kernarg_segment_ptr 1
		.amdhsa_user_sgpr_dispatch_id 0
		.amdhsa_user_sgpr_private_segment_size 0
		.amdhsa_wavefront_size32 1
		.amdhsa_uses_dynamic_stack 0
		.amdhsa_enable_private_segment 0
		.amdhsa_system_sgpr_workgroup_id_x 1
		.amdhsa_system_sgpr_workgroup_id_y 0
		.amdhsa_system_sgpr_workgroup_id_z 0
		.amdhsa_system_sgpr_workgroup_info 0
		.amdhsa_system_vgpr_workitem_id 0
		.amdhsa_next_free_vgpr 169
		.amdhsa_next_free_sgpr 5
		.amdhsa_reserve_vcc 1
		.amdhsa_float_round_mode_32 0
		.amdhsa_float_round_mode_16_64 0
		.amdhsa_float_denorm_mode_32 3
		.amdhsa_float_denorm_mode_16_64 3
		.amdhsa_fp16_overflow 0
		.amdhsa_workgroup_processor_mode 1
		.amdhsa_memory_ordered 1
		.amdhsa_forward_progress 1
		.amdhsa_inst_pref_size 11
		.amdhsa_round_robin_scheduling 0
		.amdhsa_exception_fp_ieee_invalid_op 0
		.amdhsa_exception_fp_denorm_src 0
		.amdhsa_exception_fp_ieee_div_zero 0
		.amdhsa_exception_fp_ieee_overflow 0
		.amdhsa_exception_fp_ieee_underflow 0
		.amdhsa_exception_fp_ieee_inexact 0
		.amdhsa_exception_int_div_zero 0
	.end_amdhsa_kernel
	.section	.text._Z16warp_load_kernelILj256ELj32ELj64ELN6hipcub17WarpLoadAlgorithmE3EiEvPT3_S3_,"axG",@progbits,_Z16warp_load_kernelILj256ELj32ELj64ELN6hipcub17WarpLoadAlgorithmE3EiEvPT3_S3_,comdat
.Lfunc_end52:
	.size	_Z16warp_load_kernelILj256ELj32ELj64ELN6hipcub17WarpLoadAlgorithmE3EiEvPT3_S3_, .Lfunc_end52-_Z16warp_load_kernelILj256ELj32ELj64ELN6hipcub17WarpLoadAlgorithmE3EiEvPT3_S3_
                                        ; -- End function
	.set _Z16warp_load_kernelILj256ELj32ELj64ELN6hipcub17WarpLoadAlgorithmE3EiEvPT3_S3_.num_vgpr, 51
	.set _Z16warp_load_kernelILj256ELj32ELj64ELN6hipcub17WarpLoadAlgorithmE3EiEvPT3_S3_.num_agpr, 0
	.set _Z16warp_load_kernelILj256ELj32ELj64ELN6hipcub17WarpLoadAlgorithmE3EiEvPT3_S3_.numbered_sgpr, 5
	.set _Z16warp_load_kernelILj256ELj32ELj64ELN6hipcub17WarpLoadAlgorithmE3EiEvPT3_S3_.num_named_barrier, 0
	.set _Z16warp_load_kernelILj256ELj32ELj64ELN6hipcub17WarpLoadAlgorithmE3EiEvPT3_S3_.private_seg_size, 0
	.set _Z16warp_load_kernelILj256ELj32ELj64ELN6hipcub17WarpLoadAlgorithmE3EiEvPT3_S3_.uses_vcc, 1
	.set _Z16warp_load_kernelILj256ELj32ELj64ELN6hipcub17WarpLoadAlgorithmE3EiEvPT3_S3_.uses_flat_scratch, 0
	.set _Z16warp_load_kernelILj256ELj32ELj64ELN6hipcub17WarpLoadAlgorithmE3EiEvPT3_S3_.has_dyn_sized_stack, 0
	.set _Z16warp_load_kernelILj256ELj32ELj64ELN6hipcub17WarpLoadAlgorithmE3EiEvPT3_S3_.has_recursion, 0
	.set _Z16warp_load_kernelILj256ELj32ELj64ELN6hipcub17WarpLoadAlgorithmE3EiEvPT3_S3_.has_indirect_call, 0
	.section	.AMDGPU.csdata,"",@progbits
; Kernel info:
; codeLenInByte = 1344
; TotalNumSgprs: 7
; NumVgprs: 51
; ScratchSize: 0
; MemoryBound: 1
; FloatMode: 240
; IeeeMode: 1
; LDSByteSize: 32768 bytes/workgroup (compile time only)
; SGPRBlocks: 0
; VGPRBlocks: 21
; NumSGPRsForWavesPerEU: 7
; NumVGPRsForWavesPerEU: 169
; Occupancy: 8
; WaveLimiterHint : 1
; COMPUTE_PGM_RSRC2:SCRATCH_EN: 0
; COMPUTE_PGM_RSRC2:USER_SGPR: 2
; COMPUTE_PGM_RSRC2:TRAP_HANDLER: 0
; COMPUTE_PGM_RSRC2:TGID_X_EN: 1
; COMPUTE_PGM_RSRC2:TGID_Y_EN: 0
; COMPUTE_PGM_RSRC2:TGID_Z_EN: 0
; COMPUTE_PGM_RSRC2:TIDIG_COMP_CNT: 0
	.section	.text._Z16warp_load_kernelILj256ELj64ELj64ELN6hipcub17WarpLoadAlgorithmE0EiEvPT3_S3_,"axG",@progbits,_Z16warp_load_kernelILj256ELj64ELj64ELN6hipcub17WarpLoadAlgorithmE0EiEvPT3_S3_,comdat
	.protected	_Z16warp_load_kernelILj256ELj64ELj64ELN6hipcub17WarpLoadAlgorithmE0EiEvPT3_S3_ ; -- Begin function _Z16warp_load_kernelILj256ELj64ELj64ELN6hipcub17WarpLoadAlgorithmE0EiEvPT3_S3_
	.globl	_Z16warp_load_kernelILj256ELj64ELj64ELN6hipcub17WarpLoadAlgorithmE0EiEvPT3_S3_
	.p2align	8
	.type	_Z16warp_load_kernelILj256ELj64ELj64ELN6hipcub17WarpLoadAlgorithmE0EiEvPT3_S3_,@function
_Z16warp_load_kernelILj256ELj64ELj64ELN6hipcub17WarpLoadAlgorithmE0EiEvPT3_S3_: ; @_Z16warp_load_kernelILj256ELj64ELj64ELN6hipcub17WarpLoadAlgorithmE0EiEvPT3_S3_
; %bb.0:
	s_load_b128 s[0:3], s[0:1], 0x0
	v_dual_mov_b32 v66, 0 :: v_dual_lshlrev_b32 v1, 6, v0
	s_lshl_b32 s4, ttmp9, 14
	v_mbcnt_lo_u32_b32 v3, -1, 0
	s_delay_alu instid0(VALU_DEP_2) | instskip(NEXT) | instid1(VALU_DEP_3)
	v_and_or_b32 v65, 0x3000, v1, s4
	v_mov_b32_e32 v68, v66
	s_delay_alu instid0(VALU_DEP_3) | instskip(NEXT) | instid1(VALU_DEP_3)
	v_dual_mov_b32 v70, v66 :: v_dual_lshlrev_b32 v3, 8, v3
	v_lshlrev_b64_e32 v[1:2], 2, v[65:66]
	v_or_b32_e32 v65, s4, v0
	s_delay_alu instid0(VALU_DEP_1) | instskip(SKIP_4) | instid1(VALU_DEP_1)
	v_or_b32_e32 v67, 0x3d00, v65
	v_or_b32_e32 v69, 0x3e00, v65
	v_lshlrev_b64_e32 v[71:72], 2, v[65:66]
	s_wait_kmcnt 0x0
	v_add_co_u32 v1, vcc_lo, s0, v1
	v_add_co_ci_u32_e64 v2, null, s1, v2, vcc_lo
	v_or_b32_e32 v65, 0x3f00, v65
	s_delay_alu instid0(VALU_DEP_3) | instskip(SKIP_1) | instid1(VALU_DEP_3)
	v_add_co_u32 v61, vcc_lo, v1, v3
	s_wait_alu 0xfffd
	v_add_co_ci_u32_e64 v62, null, 0, v2, vcc_lo
	v_lshlrev_b64_e32 v[67:68], 2, v[67:68]
	v_lshlrev_b64_e32 v[69:70], 2, v[69:70]
	;; [unrolled: 1-line block ×3, first 2 shown]
	s_clause 0xf
	global_load_b128 v[1:4], v[61:62], off
	global_load_b128 v[5:8], v[61:62], off offset:16
	global_load_b128 v[9:12], v[61:62], off offset:32
	global_load_b128 v[13:16], v[61:62], off offset:48
	global_load_b128 v[17:20], v[61:62], off offset:64
	global_load_b128 v[21:24], v[61:62], off offset:80
	global_load_b128 v[25:28], v[61:62], off offset:96
	global_load_b128 v[29:32], v[61:62], off offset:112
	global_load_b128 v[33:36], v[61:62], off offset:128
	global_load_b128 v[37:40], v[61:62], off offset:144
	global_load_b128 v[41:44], v[61:62], off offset:160
	global_load_b128 v[45:48], v[61:62], off offset:176
	global_load_b128 v[49:52], v[61:62], off offset:192
	global_load_b128 v[53:56], v[61:62], off offset:208
	global_load_b128 v[57:60], v[61:62], off offset:224
	global_load_b128 v[61:64], v[61:62], off offset:240
	v_add_co_u32 v71, vcc_lo, s2, v71
	s_wait_alu 0xfffd
	v_add_co_ci_u32_e64 v72, null, s3, v72, vcc_lo
	v_add_co_u32 v67, vcc_lo, s2, v67
	s_wait_alu 0xfffd
	v_add_co_ci_u32_e64 v68, null, s3, v68, vcc_lo
	;; [unrolled: 3-line block ×4, first 2 shown]
	s_wait_loadcnt 0xf
	s_clause 0x3
	global_store_b32 v[71:72], v1, off
	global_store_b32 v[71:72], v2, off offset:1024
	global_store_b32 v[71:72], v3, off offset:2048
	global_store_b32 v[71:72], v4, off offset:3072
	s_wait_loadcnt 0xe
	s_clause 0x3
	global_store_b32 v[71:72], v5, off offset:4096
	global_store_b32 v[71:72], v6, off offset:5120
	global_store_b32 v[71:72], v7, off offset:6144
	global_store_b32 v[71:72], v8, off offset:7168
	s_wait_loadcnt 0xd
	s_clause 0x3
	global_store_b32 v[71:72], v9, off offset:8192
	;; [unrolled: 6-line block ×15, first 2 shown]
	global_store_b32 v[67:68], v62, off
	global_store_b32 v[69:70], v63, off
	;; [unrolled: 1-line block ×3, first 2 shown]
	s_endpgm
	.section	.rodata,"a",@progbits
	.p2align	6, 0x0
	.amdhsa_kernel _Z16warp_load_kernelILj256ELj64ELj64ELN6hipcub17WarpLoadAlgorithmE0EiEvPT3_S3_
		.amdhsa_group_segment_fixed_size 0
		.amdhsa_private_segment_fixed_size 0
		.amdhsa_kernarg_size 16
		.amdhsa_user_sgpr_count 2
		.amdhsa_user_sgpr_dispatch_ptr 0
		.amdhsa_user_sgpr_queue_ptr 0
		.amdhsa_user_sgpr_kernarg_segment_ptr 1
		.amdhsa_user_sgpr_dispatch_id 0
		.amdhsa_user_sgpr_private_segment_size 0
		.amdhsa_wavefront_size32 1
		.amdhsa_uses_dynamic_stack 0
		.amdhsa_enable_private_segment 0
		.amdhsa_system_sgpr_workgroup_id_x 1
		.amdhsa_system_sgpr_workgroup_id_y 0
		.amdhsa_system_sgpr_workgroup_id_z 0
		.amdhsa_system_sgpr_workgroup_info 0
		.amdhsa_system_vgpr_workitem_id 0
		.amdhsa_next_free_vgpr 73
		.amdhsa_next_free_sgpr 5
		.amdhsa_reserve_vcc 1
		.amdhsa_float_round_mode_32 0
		.amdhsa_float_round_mode_16_64 0
		.amdhsa_float_denorm_mode_32 3
		.amdhsa_float_denorm_mode_16_64 3
		.amdhsa_fp16_overflow 0
		.amdhsa_workgroup_processor_mode 1
		.amdhsa_memory_ordered 1
		.amdhsa_forward_progress 1
		.amdhsa_inst_pref_size 11
		.amdhsa_round_robin_scheduling 0
		.amdhsa_exception_fp_ieee_invalid_op 0
		.amdhsa_exception_fp_denorm_src 0
		.amdhsa_exception_fp_ieee_div_zero 0
		.amdhsa_exception_fp_ieee_overflow 0
		.amdhsa_exception_fp_ieee_underflow 0
		.amdhsa_exception_fp_ieee_inexact 0
		.amdhsa_exception_int_div_zero 0
	.end_amdhsa_kernel
	.section	.text._Z16warp_load_kernelILj256ELj64ELj64ELN6hipcub17WarpLoadAlgorithmE0EiEvPT3_S3_,"axG",@progbits,_Z16warp_load_kernelILj256ELj64ELj64ELN6hipcub17WarpLoadAlgorithmE0EiEvPT3_S3_,comdat
.Lfunc_end53:
	.size	_Z16warp_load_kernelILj256ELj64ELj64ELN6hipcub17WarpLoadAlgorithmE0EiEvPT3_S3_, .Lfunc_end53-_Z16warp_load_kernelILj256ELj64ELj64ELN6hipcub17WarpLoadAlgorithmE0EiEvPT3_S3_
                                        ; -- End function
	.set _Z16warp_load_kernelILj256ELj64ELj64ELN6hipcub17WarpLoadAlgorithmE0EiEvPT3_S3_.num_vgpr, 73
	.set _Z16warp_load_kernelILj256ELj64ELj64ELN6hipcub17WarpLoadAlgorithmE0EiEvPT3_S3_.num_agpr, 0
	.set _Z16warp_load_kernelILj256ELj64ELj64ELN6hipcub17WarpLoadAlgorithmE0EiEvPT3_S3_.numbered_sgpr, 5
	.set _Z16warp_load_kernelILj256ELj64ELj64ELN6hipcub17WarpLoadAlgorithmE0EiEvPT3_S3_.num_named_barrier, 0
	.set _Z16warp_load_kernelILj256ELj64ELj64ELN6hipcub17WarpLoadAlgorithmE0EiEvPT3_S3_.private_seg_size, 0
	.set _Z16warp_load_kernelILj256ELj64ELj64ELN6hipcub17WarpLoadAlgorithmE0EiEvPT3_S3_.uses_vcc, 1
	.set _Z16warp_load_kernelILj256ELj64ELj64ELN6hipcub17WarpLoadAlgorithmE0EiEvPT3_S3_.uses_flat_scratch, 0
	.set _Z16warp_load_kernelILj256ELj64ELj64ELN6hipcub17WarpLoadAlgorithmE0EiEvPT3_S3_.has_dyn_sized_stack, 0
	.set _Z16warp_load_kernelILj256ELj64ELj64ELN6hipcub17WarpLoadAlgorithmE0EiEvPT3_S3_.has_recursion, 0
	.set _Z16warp_load_kernelILj256ELj64ELj64ELN6hipcub17WarpLoadAlgorithmE0EiEvPT3_S3_.has_indirect_call, 0
	.section	.AMDGPU.csdata,"",@progbits
; Kernel info:
; codeLenInByte = 1332
; TotalNumSgprs: 7
; NumVgprs: 73
; ScratchSize: 0
; MemoryBound: 1
; FloatMode: 240
; IeeeMode: 1
; LDSByteSize: 0 bytes/workgroup (compile time only)
; SGPRBlocks: 0
; VGPRBlocks: 9
; NumSGPRsForWavesPerEU: 7
; NumVGPRsForWavesPerEU: 73
; Occupancy: 16
; WaveLimiterHint : 1
; COMPUTE_PGM_RSRC2:SCRATCH_EN: 0
; COMPUTE_PGM_RSRC2:USER_SGPR: 2
; COMPUTE_PGM_RSRC2:TRAP_HANDLER: 0
; COMPUTE_PGM_RSRC2:TGID_X_EN: 1
; COMPUTE_PGM_RSRC2:TGID_Y_EN: 0
; COMPUTE_PGM_RSRC2:TGID_Z_EN: 0
; COMPUTE_PGM_RSRC2:TIDIG_COMP_CNT: 0
	.section	.text._Z16warp_load_kernelILj256ELj64ELj64ELN6hipcub17WarpLoadAlgorithmE1EiEvPT3_S3_,"axG",@progbits,_Z16warp_load_kernelILj256ELj64ELj64ELN6hipcub17WarpLoadAlgorithmE1EiEvPT3_S3_,comdat
	.protected	_Z16warp_load_kernelILj256ELj64ELj64ELN6hipcub17WarpLoadAlgorithmE1EiEvPT3_S3_ ; -- Begin function _Z16warp_load_kernelILj256ELj64ELj64ELN6hipcub17WarpLoadAlgorithmE1EiEvPT3_S3_
	.globl	_Z16warp_load_kernelILj256ELj64ELj64ELN6hipcub17WarpLoadAlgorithmE1EiEvPT3_S3_
	.p2align	8
	.type	_Z16warp_load_kernelILj256ELj64ELj64ELN6hipcub17WarpLoadAlgorithmE1EiEvPT3_S3_,@function
_Z16warp_load_kernelILj256ELj64ELj64ELN6hipcub17WarpLoadAlgorithmE1EiEvPT3_S3_: ; @_Z16warp_load_kernelILj256ELj64ELj64ELN6hipcub17WarpLoadAlgorithmE1EiEvPT3_S3_
; %bb.0:
	s_load_b128 s[0:3], s[0:1], 0x0
	v_dual_mov_b32 v2, 0 :: v_dual_lshlrev_b32 v1, 6, v0
	s_lshl_b32 s4, ttmp9, 14
	v_mbcnt_lo_u32_b32 v5, -1, 0
	s_delay_alu instid0(VALU_DEP_2) | instskip(NEXT) | instid1(VALU_DEP_3)
	v_and_or_b32 v1, 0x3000, v1, s4
	v_mov_b32_e32 v6, v2
	s_delay_alu instid0(VALU_DEP_2) | instskip(NEXT) | instid1(VALU_DEP_4)
	v_lshlrev_b64_e32 v[3:4], 2, v[1:2]
	v_lshlrev_b32_e32 v1, 2, v5
	s_wait_kmcnt 0x0
	s_delay_alu instid0(VALU_DEP_2) | instskip(NEXT) | instid1(VALU_DEP_1)
	v_add_co_u32 v3, vcc_lo, s0, v3
	v_add_co_ci_u32_e64 v4, null, s1, v4, vcc_lo
	s_delay_alu instid0(VALU_DEP_2) | instskip(SKIP_1) | instid1(VALU_DEP_2)
	v_add_co_u32 v3, vcc_lo, v3, v1
	s_wait_alu 0xfffd
	v_add_co_ci_u32_e64 v4, null, 0, v4, vcc_lo
	v_or_b32_e32 v1, s4, v0
	s_clause 0x1f
	global_load_b32 v9, v[3:4], off
	global_load_b32 v10, v[3:4], off offset:256
	global_load_b32 v11, v[3:4], off offset:512
	;; [unrolled: 1-line block ×31, first 2 shown]
	s_clause 0x1f
	global_load_b32 v41, v[3:4], off offset:8192
	global_load_b32 v42, v[3:4], off offset:8448
	;; [unrolled: 1-line block ×32, first 2 shown]
	v_mov_b32_e32 v4, v2
	v_or_b32_e32 v3, 0x3d00, v1
	v_or_b32_e32 v5, 0x3e00, v1
	v_lshlrev_b64_e32 v[7:8], 2, v[1:2]
	v_or_b32_e32 v1, 0x3f00, v1
	s_delay_alu instid0(VALU_DEP_4) | instskip(NEXT) | instid1(VALU_DEP_4)
	v_lshlrev_b64_e32 v[3:4], 2, v[3:4]
	v_lshlrev_b64_e32 v[5:6], 2, v[5:6]
	s_delay_alu instid0(VALU_DEP_3)
	v_lshlrev_b64_e32 v[0:1], 2, v[1:2]
	v_add_co_u32 v7, vcc_lo, s2, v7
	s_wait_alu 0xfffd
	v_add_co_ci_u32_e64 v8, null, s3, v8, vcc_lo
	v_add_co_u32 v2, vcc_lo, s2, v3
	s_wait_alu 0xfffd
	v_add_co_ci_u32_e64 v3, null, s3, v4, vcc_lo
	;; [unrolled: 3-line block ×4, first 2 shown]
	s_wait_loadcnt 0x3e
	s_clause 0x1
	global_store_b32 v[7:8], v9, off
	global_store_b32 v[7:8], v10, off offset:1024
	s_wait_loadcnt 0x3d
	global_store_b32 v[7:8], v11, off offset:2048
	s_wait_loadcnt 0x3c
	;; [unrolled: 2-line block ×60, first 2 shown]
	global_store_b32 v[2:3], v70, off
	s_wait_loadcnt 0x1
	global_store_b32 v[4:5], v71, off
	s_wait_loadcnt 0x0
	global_store_b32 v[0:1], v72, off
	s_endpgm
	.section	.rodata,"a",@progbits
	.p2align	6, 0x0
	.amdhsa_kernel _Z16warp_load_kernelILj256ELj64ELj64ELN6hipcub17WarpLoadAlgorithmE1EiEvPT3_S3_
		.amdhsa_group_segment_fixed_size 0
		.amdhsa_private_segment_fixed_size 0
		.amdhsa_kernarg_size 16
		.amdhsa_user_sgpr_count 2
		.amdhsa_user_sgpr_dispatch_ptr 0
		.amdhsa_user_sgpr_queue_ptr 0
		.amdhsa_user_sgpr_kernarg_segment_ptr 1
		.amdhsa_user_sgpr_dispatch_id 0
		.amdhsa_user_sgpr_private_segment_size 0
		.amdhsa_wavefront_size32 1
		.amdhsa_uses_dynamic_stack 0
		.amdhsa_enable_private_segment 0
		.amdhsa_system_sgpr_workgroup_id_x 1
		.amdhsa_system_sgpr_workgroup_id_y 0
		.amdhsa_system_sgpr_workgroup_id_z 0
		.amdhsa_system_sgpr_workgroup_info 0
		.amdhsa_system_vgpr_workitem_id 0
		.amdhsa_next_free_vgpr 73
		.amdhsa_next_free_sgpr 5
		.amdhsa_reserve_vcc 1
		.amdhsa_float_round_mode_32 0
		.amdhsa_float_round_mode_16_64 0
		.amdhsa_float_denorm_mode_32 3
		.amdhsa_float_denorm_mode_16_64 3
		.amdhsa_fp16_overflow 0
		.amdhsa_workgroup_processor_mode 1
		.amdhsa_memory_ordered 1
		.amdhsa_forward_progress 1
		.amdhsa_inst_pref_size 16
		.amdhsa_round_robin_scheduling 0
		.amdhsa_exception_fp_ieee_invalid_op 0
		.amdhsa_exception_fp_denorm_src 0
		.amdhsa_exception_fp_ieee_div_zero 0
		.amdhsa_exception_fp_ieee_overflow 0
		.amdhsa_exception_fp_ieee_underflow 0
		.amdhsa_exception_fp_ieee_inexact 0
		.amdhsa_exception_int_div_zero 0
	.end_amdhsa_kernel
	.section	.text._Z16warp_load_kernelILj256ELj64ELj64ELN6hipcub17WarpLoadAlgorithmE1EiEvPT3_S3_,"axG",@progbits,_Z16warp_load_kernelILj256ELj64ELj64ELN6hipcub17WarpLoadAlgorithmE1EiEvPT3_S3_,comdat
.Lfunc_end54:
	.size	_Z16warp_load_kernelILj256ELj64ELj64ELN6hipcub17WarpLoadAlgorithmE1EiEvPT3_S3_, .Lfunc_end54-_Z16warp_load_kernelILj256ELj64ELj64ELN6hipcub17WarpLoadAlgorithmE1EiEvPT3_S3_
                                        ; -- End function
	.set _Z16warp_load_kernelILj256ELj64ELj64ELN6hipcub17WarpLoadAlgorithmE1EiEvPT3_S3_.num_vgpr, 73
	.set _Z16warp_load_kernelILj256ELj64ELj64ELN6hipcub17WarpLoadAlgorithmE1EiEvPT3_S3_.num_agpr, 0
	.set _Z16warp_load_kernelILj256ELj64ELj64ELN6hipcub17WarpLoadAlgorithmE1EiEvPT3_S3_.numbered_sgpr, 5
	.set _Z16warp_load_kernelILj256ELj64ELj64ELN6hipcub17WarpLoadAlgorithmE1EiEvPT3_S3_.num_named_barrier, 0
	.set _Z16warp_load_kernelILj256ELj64ELj64ELN6hipcub17WarpLoadAlgorithmE1EiEvPT3_S3_.private_seg_size, 0
	.set _Z16warp_load_kernelILj256ELj64ELj64ELN6hipcub17WarpLoadAlgorithmE1EiEvPT3_S3_.uses_vcc, 1
	.set _Z16warp_load_kernelILj256ELj64ELj64ELN6hipcub17WarpLoadAlgorithmE1EiEvPT3_S3_.uses_flat_scratch, 0
	.set _Z16warp_load_kernelILj256ELj64ELj64ELN6hipcub17WarpLoadAlgorithmE1EiEvPT3_S3_.has_dyn_sized_stack, 0
	.set _Z16warp_load_kernelILj256ELj64ELj64ELN6hipcub17WarpLoadAlgorithmE1EiEvPT3_S3_.has_recursion, 0
	.set _Z16warp_load_kernelILj256ELj64ELj64ELN6hipcub17WarpLoadAlgorithmE1EiEvPT3_S3_.has_indirect_call, 0
	.section	.AMDGPU.csdata,"",@progbits
; Kernel info:
; codeLenInByte = 2048
; TotalNumSgprs: 7
; NumVgprs: 73
; ScratchSize: 0
; MemoryBound: 1
; FloatMode: 240
; IeeeMode: 1
; LDSByteSize: 0 bytes/workgroup (compile time only)
; SGPRBlocks: 0
; VGPRBlocks: 9
; NumSGPRsForWavesPerEU: 7
; NumVGPRsForWavesPerEU: 73
; Occupancy: 16
; WaveLimiterHint : 1
; COMPUTE_PGM_RSRC2:SCRATCH_EN: 0
; COMPUTE_PGM_RSRC2:USER_SGPR: 2
; COMPUTE_PGM_RSRC2:TRAP_HANDLER: 0
; COMPUTE_PGM_RSRC2:TGID_X_EN: 1
; COMPUTE_PGM_RSRC2:TGID_Y_EN: 0
; COMPUTE_PGM_RSRC2:TGID_Z_EN: 0
; COMPUTE_PGM_RSRC2:TIDIG_COMP_CNT: 0
	.section	.text._Z16warp_load_kernelILj256ELj64ELj64ELN6hipcub17WarpLoadAlgorithmE2EiEvPT3_S3_,"axG",@progbits,_Z16warp_load_kernelILj256ELj64ELj64ELN6hipcub17WarpLoadAlgorithmE2EiEvPT3_S3_,comdat
	.protected	_Z16warp_load_kernelILj256ELj64ELj64ELN6hipcub17WarpLoadAlgorithmE2EiEvPT3_S3_ ; -- Begin function _Z16warp_load_kernelILj256ELj64ELj64ELN6hipcub17WarpLoadAlgorithmE2EiEvPT3_S3_
	.globl	_Z16warp_load_kernelILj256ELj64ELj64ELN6hipcub17WarpLoadAlgorithmE2EiEvPT3_S3_
	.p2align	8
	.type	_Z16warp_load_kernelILj256ELj64ELj64ELN6hipcub17WarpLoadAlgorithmE2EiEvPT3_S3_,@function
_Z16warp_load_kernelILj256ELj64ELj64ELN6hipcub17WarpLoadAlgorithmE2EiEvPT3_S3_: ; @_Z16warp_load_kernelILj256ELj64ELj64ELN6hipcub17WarpLoadAlgorithmE2EiEvPT3_S3_
; %bb.0:
	s_load_b128 s[0:3], s[0:1], 0x0
	v_dual_mov_b32 v66, 0 :: v_dual_lshlrev_b32 v1, 6, v0
	s_lshl_b32 s4, ttmp9, 14
	v_mbcnt_lo_u32_b32 v3, -1, 0
	s_delay_alu instid0(VALU_DEP_2) | instskip(NEXT) | instid1(VALU_DEP_3)
	v_and_or_b32 v65, 0x3000, v1, s4
	v_mov_b32_e32 v68, v66
	s_delay_alu instid0(VALU_DEP_3) | instskip(NEXT) | instid1(VALU_DEP_3)
	v_dual_mov_b32 v70, v66 :: v_dual_lshlrev_b32 v3, 8, v3
	v_lshlrev_b64_e32 v[1:2], 2, v[65:66]
	v_or_b32_e32 v65, s4, v0
	s_delay_alu instid0(VALU_DEP_1) | instskip(SKIP_4) | instid1(VALU_DEP_1)
	v_or_b32_e32 v67, 0x3d00, v65
	v_or_b32_e32 v69, 0x3e00, v65
	v_lshlrev_b64_e32 v[71:72], 2, v[65:66]
	s_wait_kmcnt 0x0
	v_add_co_u32 v1, vcc_lo, s0, v1
	v_add_co_ci_u32_e64 v2, null, s1, v2, vcc_lo
	v_or_b32_e32 v65, 0x3f00, v65
	s_delay_alu instid0(VALU_DEP_3) | instskip(SKIP_1) | instid1(VALU_DEP_3)
	v_add_co_u32 v61, vcc_lo, v1, v3
	s_wait_alu 0xfffd
	v_add_co_ci_u32_e64 v62, null, 0, v2, vcc_lo
	v_lshlrev_b64_e32 v[67:68], 2, v[67:68]
	v_lshlrev_b64_e32 v[69:70], 2, v[69:70]
	;; [unrolled: 1-line block ×3, first 2 shown]
	s_clause 0xf
	global_load_b128 v[1:4], v[61:62], off
	global_load_b128 v[5:8], v[61:62], off offset:16
	global_load_b128 v[9:12], v[61:62], off offset:32
	;; [unrolled: 1-line block ×15, first 2 shown]
	v_add_co_u32 v71, vcc_lo, s2, v71
	s_wait_alu 0xfffd
	v_add_co_ci_u32_e64 v72, null, s3, v72, vcc_lo
	v_add_co_u32 v67, vcc_lo, s2, v67
	s_wait_alu 0xfffd
	v_add_co_ci_u32_e64 v68, null, s3, v68, vcc_lo
	;; [unrolled: 3-line block ×4, first 2 shown]
	s_wait_loadcnt 0xf
	s_clause 0x3
	global_store_b32 v[71:72], v1, off
	global_store_b32 v[71:72], v2, off offset:1024
	global_store_b32 v[71:72], v3, off offset:2048
	global_store_b32 v[71:72], v4, off offset:3072
	s_wait_loadcnt 0xe
	s_clause 0x3
	global_store_b32 v[71:72], v5, off offset:4096
	global_store_b32 v[71:72], v6, off offset:5120
	global_store_b32 v[71:72], v7, off offset:6144
	global_store_b32 v[71:72], v8, off offset:7168
	s_wait_loadcnt 0xd
	s_clause 0x3
	global_store_b32 v[71:72], v9, off offset:8192
	;; [unrolled: 6-line block ×15, first 2 shown]
	global_store_b32 v[67:68], v62, off
	global_store_b32 v[69:70], v63, off
	global_store_b32 v[65:66], v64, off
	s_endpgm
	.section	.rodata,"a",@progbits
	.p2align	6, 0x0
	.amdhsa_kernel _Z16warp_load_kernelILj256ELj64ELj64ELN6hipcub17WarpLoadAlgorithmE2EiEvPT3_S3_
		.amdhsa_group_segment_fixed_size 0
		.amdhsa_private_segment_fixed_size 0
		.amdhsa_kernarg_size 16
		.amdhsa_user_sgpr_count 2
		.amdhsa_user_sgpr_dispatch_ptr 0
		.amdhsa_user_sgpr_queue_ptr 0
		.amdhsa_user_sgpr_kernarg_segment_ptr 1
		.amdhsa_user_sgpr_dispatch_id 0
		.amdhsa_user_sgpr_private_segment_size 0
		.amdhsa_wavefront_size32 1
		.amdhsa_uses_dynamic_stack 0
		.amdhsa_enable_private_segment 0
		.amdhsa_system_sgpr_workgroup_id_x 1
		.amdhsa_system_sgpr_workgroup_id_y 0
		.amdhsa_system_sgpr_workgroup_id_z 0
		.amdhsa_system_sgpr_workgroup_info 0
		.amdhsa_system_vgpr_workitem_id 0
		.amdhsa_next_free_vgpr 73
		.amdhsa_next_free_sgpr 5
		.amdhsa_reserve_vcc 1
		.amdhsa_float_round_mode_32 0
		.amdhsa_float_round_mode_16_64 0
		.amdhsa_float_denorm_mode_32 3
		.amdhsa_float_denorm_mode_16_64 3
		.amdhsa_fp16_overflow 0
		.amdhsa_workgroup_processor_mode 1
		.amdhsa_memory_ordered 1
		.amdhsa_forward_progress 1
		.amdhsa_inst_pref_size 11
		.amdhsa_round_robin_scheduling 0
		.amdhsa_exception_fp_ieee_invalid_op 0
		.amdhsa_exception_fp_denorm_src 0
		.amdhsa_exception_fp_ieee_div_zero 0
		.amdhsa_exception_fp_ieee_overflow 0
		.amdhsa_exception_fp_ieee_underflow 0
		.amdhsa_exception_fp_ieee_inexact 0
		.amdhsa_exception_int_div_zero 0
	.end_amdhsa_kernel
	.section	.text._Z16warp_load_kernelILj256ELj64ELj64ELN6hipcub17WarpLoadAlgorithmE2EiEvPT3_S3_,"axG",@progbits,_Z16warp_load_kernelILj256ELj64ELj64ELN6hipcub17WarpLoadAlgorithmE2EiEvPT3_S3_,comdat
.Lfunc_end55:
	.size	_Z16warp_load_kernelILj256ELj64ELj64ELN6hipcub17WarpLoadAlgorithmE2EiEvPT3_S3_, .Lfunc_end55-_Z16warp_load_kernelILj256ELj64ELj64ELN6hipcub17WarpLoadAlgorithmE2EiEvPT3_S3_
                                        ; -- End function
	.set _Z16warp_load_kernelILj256ELj64ELj64ELN6hipcub17WarpLoadAlgorithmE2EiEvPT3_S3_.num_vgpr, 73
	.set _Z16warp_load_kernelILj256ELj64ELj64ELN6hipcub17WarpLoadAlgorithmE2EiEvPT3_S3_.num_agpr, 0
	.set _Z16warp_load_kernelILj256ELj64ELj64ELN6hipcub17WarpLoadAlgorithmE2EiEvPT3_S3_.numbered_sgpr, 5
	.set _Z16warp_load_kernelILj256ELj64ELj64ELN6hipcub17WarpLoadAlgorithmE2EiEvPT3_S3_.num_named_barrier, 0
	.set _Z16warp_load_kernelILj256ELj64ELj64ELN6hipcub17WarpLoadAlgorithmE2EiEvPT3_S3_.private_seg_size, 0
	.set _Z16warp_load_kernelILj256ELj64ELj64ELN6hipcub17WarpLoadAlgorithmE2EiEvPT3_S3_.uses_vcc, 1
	.set _Z16warp_load_kernelILj256ELj64ELj64ELN6hipcub17WarpLoadAlgorithmE2EiEvPT3_S3_.uses_flat_scratch, 0
	.set _Z16warp_load_kernelILj256ELj64ELj64ELN6hipcub17WarpLoadAlgorithmE2EiEvPT3_S3_.has_dyn_sized_stack, 0
	.set _Z16warp_load_kernelILj256ELj64ELj64ELN6hipcub17WarpLoadAlgorithmE2EiEvPT3_S3_.has_recursion, 0
	.set _Z16warp_load_kernelILj256ELj64ELj64ELN6hipcub17WarpLoadAlgorithmE2EiEvPT3_S3_.has_indirect_call, 0
	.section	.AMDGPU.csdata,"",@progbits
; Kernel info:
; codeLenInByte = 1332
; TotalNumSgprs: 7
; NumVgprs: 73
; ScratchSize: 0
; MemoryBound: 1
; FloatMode: 240
; IeeeMode: 1
; LDSByteSize: 0 bytes/workgroup (compile time only)
; SGPRBlocks: 0
; VGPRBlocks: 9
; NumSGPRsForWavesPerEU: 7
; NumVGPRsForWavesPerEU: 73
; Occupancy: 16
; WaveLimiterHint : 1
; COMPUTE_PGM_RSRC2:SCRATCH_EN: 0
; COMPUTE_PGM_RSRC2:USER_SGPR: 2
; COMPUTE_PGM_RSRC2:TRAP_HANDLER: 0
; COMPUTE_PGM_RSRC2:TGID_X_EN: 1
; COMPUTE_PGM_RSRC2:TGID_Y_EN: 0
; COMPUTE_PGM_RSRC2:TGID_Z_EN: 0
; COMPUTE_PGM_RSRC2:TIDIG_COMP_CNT: 0
	.section	.text._Z16warp_load_kernelILj256ELj4ELj64ELN6hipcub17WarpLoadAlgorithmE0EdEvPT3_S3_,"axG",@progbits,_Z16warp_load_kernelILj256ELj4ELj64ELN6hipcub17WarpLoadAlgorithmE0EdEvPT3_S3_,comdat
	.protected	_Z16warp_load_kernelILj256ELj4ELj64ELN6hipcub17WarpLoadAlgorithmE0EdEvPT3_S3_ ; -- Begin function _Z16warp_load_kernelILj256ELj4ELj64ELN6hipcub17WarpLoadAlgorithmE0EdEvPT3_S3_
	.globl	_Z16warp_load_kernelILj256ELj4ELj64ELN6hipcub17WarpLoadAlgorithmE0EdEvPT3_S3_
	.p2align	8
	.type	_Z16warp_load_kernelILj256ELj4ELj64ELN6hipcub17WarpLoadAlgorithmE0EdEvPT3_S3_,@function
_Z16warp_load_kernelILj256ELj4ELj64ELN6hipcub17WarpLoadAlgorithmE0EdEvPT3_S3_: ; @_Z16warp_load_kernelILj256ELj4ELj64ELN6hipcub17WarpLoadAlgorithmE0EdEvPT3_S3_
; %bb.0:
	s_load_b128 s[0:3], s[0:1], 0x0
	v_dual_mov_b32 v10, 0 :: v_dual_lshlrev_b32 v1, 2, v0
	s_lshl_b32 s4, ttmp9, 10
	v_mbcnt_lo_u32_b32 v3, -1, 0
	s_delay_alu instid0(VALU_DEP_2) | instskip(NEXT) | instid1(VALU_DEP_3)
	v_and_or_b32 v9, 0x300, v1, s4
	v_mov_b32_e32 v12, v10
	s_delay_alu instid0(VALU_DEP_3) | instskip(NEXT) | instid1(VALU_DEP_3)
	v_dual_mov_b32 v14, v10 :: v_dual_lshlrev_b32 v3, 5, v3
	v_lshlrev_b64_e32 v[1:2], 3, v[9:10]
	v_or_b32_e32 v9, s4, v0
	s_delay_alu instid0(VALU_DEP_1) | instskip(SKIP_4) | instid1(VALU_DEP_1)
	v_or_b32_e32 v11, 0x100, v9
	v_or_b32_e32 v13, 0x200, v9
	v_lshlrev_b64_e32 v[15:16], 3, v[9:10]
	s_wait_kmcnt 0x0
	v_add_co_u32 v1, vcc_lo, s0, v1
	v_add_co_ci_u32_e64 v2, null, s1, v2, vcc_lo
	v_or_b32_e32 v9, 0x300, v9
	s_delay_alu instid0(VALU_DEP_3) | instskip(SKIP_1) | instid1(VALU_DEP_3)
	v_add_co_u32 v5, vcc_lo, v1, v3
	s_wait_alu 0xfffd
	v_add_co_ci_u32_e64 v6, null, 0, v2, vcc_lo
	v_lshlrev_b64_e32 v[11:12], 3, v[11:12]
	v_lshlrev_b64_e32 v[13:14], 3, v[13:14]
	;; [unrolled: 1-line block ×3, first 2 shown]
	s_clause 0x1
	global_load_b128 v[1:4], v[5:6], off
	global_load_b128 v[5:8], v[5:6], off offset:16
	v_add_co_u32 v15, vcc_lo, s2, v15
	s_wait_alu 0xfffd
	v_add_co_ci_u32_e64 v16, null, s3, v16, vcc_lo
	v_add_co_u32 v11, vcc_lo, s2, v11
	s_wait_alu 0xfffd
	v_add_co_ci_u32_e64 v12, null, s3, v12, vcc_lo
	;; [unrolled: 3-line block ×4, first 2 shown]
	s_wait_loadcnt 0x1
	s_clause 0x1
	global_store_b64 v[15:16], v[1:2], off
	global_store_b64 v[11:12], v[3:4], off
	s_wait_loadcnt 0x0
	s_clause 0x1
	global_store_b64 v[13:14], v[5:6], off
	global_store_b64 v[9:10], v[7:8], off
	s_endpgm
	.section	.rodata,"a",@progbits
	.p2align	6, 0x0
	.amdhsa_kernel _Z16warp_load_kernelILj256ELj4ELj64ELN6hipcub17WarpLoadAlgorithmE0EdEvPT3_S3_
		.amdhsa_group_segment_fixed_size 0
		.amdhsa_private_segment_fixed_size 0
		.amdhsa_kernarg_size 16
		.amdhsa_user_sgpr_count 2
		.amdhsa_user_sgpr_dispatch_ptr 0
		.amdhsa_user_sgpr_queue_ptr 0
		.amdhsa_user_sgpr_kernarg_segment_ptr 1
		.amdhsa_user_sgpr_dispatch_id 0
		.amdhsa_user_sgpr_private_segment_size 0
		.amdhsa_wavefront_size32 1
		.amdhsa_uses_dynamic_stack 0
		.amdhsa_enable_private_segment 0
		.amdhsa_system_sgpr_workgroup_id_x 1
		.amdhsa_system_sgpr_workgroup_id_y 0
		.amdhsa_system_sgpr_workgroup_id_z 0
		.amdhsa_system_sgpr_workgroup_info 0
		.amdhsa_system_vgpr_workitem_id 0
		.amdhsa_next_free_vgpr 17
		.amdhsa_next_free_sgpr 5
		.amdhsa_reserve_vcc 1
		.amdhsa_float_round_mode_32 0
		.amdhsa_float_round_mode_16_64 0
		.amdhsa_float_denorm_mode_32 3
		.amdhsa_float_denorm_mode_16_64 3
		.amdhsa_fp16_overflow 0
		.amdhsa_workgroup_processor_mode 1
		.amdhsa_memory_ordered 1
		.amdhsa_forward_progress 1
		.amdhsa_inst_pref_size 3
		.amdhsa_round_robin_scheduling 0
		.amdhsa_exception_fp_ieee_invalid_op 0
		.amdhsa_exception_fp_denorm_src 0
		.amdhsa_exception_fp_ieee_div_zero 0
		.amdhsa_exception_fp_ieee_overflow 0
		.amdhsa_exception_fp_ieee_underflow 0
		.amdhsa_exception_fp_ieee_inexact 0
		.amdhsa_exception_int_div_zero 0
	.end_amdhsa_kernel
	.section	.text._Z16warp_load_kernelILj256ELj4ELj64ELN6hipcub17WarpLoadAlgorithmE0EdEvPT3_S3_,"axG",@progbits,_Z16warp_load_kernelILj256ELj4ELj64ELN6hipcub17WarpLoadAlgorithmE0EdEvPT3_S3_,comdat
.Lfunc_end56:
	.size	_Z16warp_load_kernelILj256ELj4ELj64ELN6hipcub17WarpLoadAlgorithmE0EdEvPT3_S3_, .Lfunc_end56-_Z16warp_load_kernelILj256ELj4ELj64ELN6hipcub17WarpLoadAlgorithmE0EdEvPT3_S3_
                                        ; -- End function
	.set _Z16warp_load_kernelILj256ELj4ELj64ELN6hipcub17WarpLoadAlgorithmE0EdEvPT3_S3_.num_vgpr, 17
	.set _Z16warp_load_kernelILj256ELj4ELj64ELN6hipcub17WarpLoadAlgorithmE0EdEvPT3_S3_.num_agpr, 0
	.set _Z16warp_load_kernelILj256ELj4ELj64ELN6hipcub17WarpLoadAlgorithmE0EdEvPT3_S3_.numbered_sgpr, 5
	.set _Z16warp_load_kernelILj256ELj4ELj64ELN6hipcub17WarpLoadAlgorithmE0EdEvPT3_S3_.num_named_barrier, 0
	.set _Z16warp_load_kernelILj256ELj4ELj64ELN6hipcub17WarpLoadAlgorithmE0EdEvPT3_S3_.private_seg_size, 0
	.set _Z16warp_load_kernelILj256ELj4ELj64ELN6hipcub17WarpLoadAlgorithmE0EdEvPT3_S3_.uses_vcc, 1
	.set _Z16warp_load_kernelILj256ELj4ELj64ELN6hipcub17WarpLoadAlgorithmE0EdEvPT3_S3_.uses_flat_scratch, 0
	.set _Z16warp_load_kernelILj256ELj4ELj64ELN6hipcub17WarpLoadAlgorithmE0EdEvPT3_S3_.has_dyn_sized_stack, 0
	.set _Z16warp_load_kernelILj256ELj4ELj64ELN6hipcub17WarpLoadAlgorithmE0EdEvPT3_S3_.has_recursion, 0
	.set _Z16warp_load_kernelILj256ELj4ELj64ELN6hipcub17WarpLoadAlgorithmE0EdEvPT3_S3_.has_indirect_call, 0
	.section	.AMDGPU.csdata,"",@progbits
; Kernel info:
; codeLenInByte = 332
; TotalNumSgprs: 7
; NumVgprs: 17
; ScratchSize: 0
; MemoryBound: 0
; FloatMode: 240
; IeeeMode: 1
; LDSByteSize: 0 bytes/workgroup (compile time only)
; SGPRBlocks: 0
; VGPRBlocks: 2
; NumSGPRsForWavesPerEU: 7
; NumVGPRsForWavesPerEU: 17
; Occupancy: 16
; WaveLimiterHint : 0
; COMPUTE_PGM_RSRC2:SCRATCH_EN: 0
; COMPUTE_PGM_RSRC2:USER_SGPR: 2
; COMPUTE_PGM_RSRC2:TRAP_HANDLER: 0
; COMPUTE_PGM_RSRC2:TGID_X_EN: 1
; COMPUTE_PGM_RSRC2:TGID_Y_EN: 0
; COMPUTE_PGM_RSRC2:TGID_Z_EN: 0
; COMPUTE_PGM_RSRC2:TIDIG_COMP_CNT: 0
	.section	.text._Z16warp_load_kernelILj256ELj4ELj64ELN6hipcub17WarpLoadAlgorithmE1EdEvPT3_S3_,"axG",@progbits,_Z16warp_load_kernelILj256ELj4ELj64ELN6hipcub17WarpLoadAlgorithmE1EdEvPT3_S3_,comdat
	.protected	_Z16warp_load_kernelILj256ELj4ELj64ELN6hipcub17WarpLoadAlgorithmE1EdEvPT3_S3_ ; -- Begin function _Z16warp_load_kernelILj256ELj4ELj64ELN6hipcub17WarpLoadAlgorithmE1EdEvPT3_S3_
	.globl	_Z16warp_load_kernelILj256ELj4ELj64ELN6hipcub17WarpLoadAlgorithmE1EdEvPT3_S3_
	.p2align	8
	.type	_Z16warp_load_kernelILj256ELj4ELj64ELN6hipcub17WarpLoadAlgorithmE1EdEvPT3_S3_,@function
_Z16warp_load_kernelILj256ELj4ELj64ELN6hipcub17WarpLoadAlgorithmE1EdEvPT3_S3_: ; @_Z16warp_load_kernelILj256ELj4ELj64ELN6hipcub17WarpLoadAlgorithmE1EdEvPT3_S3_
; %bb.0:
	s_load_b128 s[0:3], s[0:1], 0x0
	v_dual_mov_b32 v2, 0 :: v_dual_lshlrev_b32 v1, 2, v0
	s_lshl_b32 s4, ttmp9, 10
	v_mbcnt_lo_u32_b32 v5, -1, 0
	s_delay_alu instid0(VALU_DEP_2) | instskip(NEXT) | instid1(VALU_DEP_3)
	v_and_or_b32 v1, 0x300, v1, s4
	v_mov_b32_e32 v14, v2
	v_mov_b32_e32 v12, v2
	s_delay_alu instid0(VALU_DEP_3) | instskip(SKIP_2) | instid1(VALU_DEP_2)
	v_lshlrev_b64_e32 v[3:4], 3, v[1:2]
	v_lshlrev_b32_e32 v1, 3, v5
	s_wait_kmcnt 0x0
	v_add_co_u32 v3, vcc_lo, s0, v3
	s_delay_alu instid0(VALU_DEP_1) | instskip(NEXT) | instid1(VALU_DEP_2)
	v_add_co_ci_u32_e64 v4, null, s1, v4, vcc_lo
	v_add_co_u32 v3, vcc_lo, v3, v1
	s_wait_alu 0xfffd
	s_delay_alu instid0(VALU_DEP_2)
	v_add_co_ci_u32_e64 v4, null, 0, v4, vcc_lo
	v_or_b32_e32 v1, s4, v0
	s_clause 0x3
	global_load_b64 v[5:6], v[3:4], off
	global_load_b64 v[7:8], v[3:4], off offset:512
	global_load_b64 v[9:10], v[3:4], off offset:1024
	;; [unrolled: 1-line block ×3, first 2 shown]
	v_or_b32_e32 v11, 0x100, v1
	v_or_b32_e32 v13, 0x200, v1
	v_lshlrev_b64_e32 v[15:16], 3, v[1:2]
	v_or_b32_e32 v1, 0x300, v1
	s_delay_alu instid0(VALU_DEP_4) | instskip(NEXT) | instid1(VALU_DEP_4)
	v_lshlrev_b64_e32 v[11:12], 3, v[11:12]
	v_lshlrev_b64_e32 v[13:14], 3, v[13:14]
	s_delay_alu instid0(VALU_DEP_3)
	v_lshlrev_b64_e32 v[0:1], 3, v[1:2]
	v_add_co_u32 v15, vcc_lo, s2, v15
	s_wait_alu 0xfffd
	v_add_co_ci_u32_e64 v16, null, s3, v16, vcc_lo
	v_add_co_u32 v11, vcc_lo, s2, v11
	s_wait_alu 0xfffd
	v_add_co_ci_u32_e64 v12, null, s3, v12, vcc_lo
	;; [unrolled: 3-line block ×4, first 2 shown]
	s_wait_loadcnt 0x3
	global_store_b64 v[15:16], v[5:6], off
	s_wait_loadcnt 0x2
	global_store_b64 v[11:12], v[7:8], off
	;; [unrolled: 2-line block ×4, first 2 shown]
	s_endpgm
	.section	.rodata,"a",@progbits
	.p2align	6, 0x0
	.amdhsa_kernel _Z16warp_load_kernelILj256ELj4ELj64ELN6hipcub17WarpLoadAlgorithmE1EdEvPT3_S3_
		.amdhsa_group_segment_fixed_size 0
		.amdhsa_private_segment_fixed_size 0
		.amdhsa_kernarg_size 16
		.amdhsa_user_sgpr_count 2
		.amdhsa_user_sgpr_dispatch_ptr 0
		.amdhsa_user_sgpr_queue_ptr 0
		.amdhsa_user_sgpr_kernarg_segment_ptr 1
		.amdhsa_user_sgpr_dispatch_id 0
		.amdhsa_user_sgpr_private_segment_size 0
		.amdhsa_wavefront_size32 1
		.amdhsa_uses_dynamic_stack 0
		.amdhsa_enable_private_segment 0
		.amdhsa_system_sgpr_workgroup_id_x 1
		.amdhsa_system_sgpr_workgroup_id_y 0
		.amdhsa_system_sgpr_workgroup_id_z 0
		.amdhsa_system_sgpr_workgroup_info 0
		.amdhsa_system_vgpr_workitem_id 0
		.amdhsa_next_free_vgpr 17
		.amdhsa_next_free_sgpr 5
		.amdhsa_reserve_vcc 1
		.amdhsa_float_round_mode_32 0
		.amdhsa_float_round_mode_16_64 0
		.amdhsa_float_denorm_mode_32 3
		.amdhsa_float_denorm_mode_16_64 3
		.amdhsa_fp16_overflow 0
		.amdhsa_workgroup_processor_mode 1
		.amdhsa_memory_ordered 1
		.amdhsa_forward_progress 1
		.amdhsa_inst_pref_size 3
		.amdhsa_round_robin_scheduling 0
		.amdhsa_exception_fp_ieee_invalid_op 0
		.amdhsa_exception_fp_denorm_src 0
		.amdhsa_exception_fp_ieee_div_zero 0
		.amdhsa_exception_fp_ieee_overflow 0
		.amdhsa_exception_fp_ieee_underflow 0
		.amdhsa_exception_fp_ieee_inexact 0
		.amdhsa_exception_int_div_zero 0
	.end_amdhsa_kernel
	.section	.text._Z16warp_load_kernelILj256ELj4ELj64ELN6hipcub17WarpLoadAlgorithmE1EdEvPT3_S3_,"axG",@progbits,_Z16warp_load_kernelILj256ELj4ELj64ELN6hipcub17WarpLoadAlgorithmE1EdEvPT3_S3_,comdat
.Lfunc_end57:
	.size	_Z16warp_load_kernelILj256ELj4ELj64ELN6hipcub17WarpLoadAlgorithmE1EdEvPT3_S3_, .Lfunc_end57-_Z16warp_load_kernelILj256ELj4ELj64ELN6hipcub17WarpLoadAlgorithmE1EdEvPT3_S3_
                                        ; -- End function
	.set _Z16warp_load_kernelILj256ELj4ELj64ELN6hipcub17WarpLoadAlgorithmE1EdEvPT3_S3_.num_vgpr, 17
	.set _Z16warp_load_kernelILj256ELj4ELj64ELN6hipcub17WarpLoadAlgorithmE1EdEvPT3_S3_.num_agpr, 0
	.set _Z16warp_load_kernelILj256ELj4ELj64ELN6hipcub17WarpLoadAlgorithmE1EdEvPT3_S3_.numbered_sgpr, 5
	.set _Z16warp_load_kernelILj256ELj4ELj64ELN6hipcub17WarpLoadAlgorithmE1EdEvPT3_S3_.num_named_barrier, 0
	.set _Z16warp_load_kernelILj256ELj4ELj64ELN6hipcub17WarpLoadAlgorithmE1EdEvPT3_S3_.private_seg_size, 0
	.set _Z16warp_load_kernelILj256ELj4ELj64ELN6hipcub17WarpLoadAlgorithmE1EdEvPT3_S3_.uses_vcc, 1
	.set _Z16warp_load_kernelILj256ELj4ELj64ELN6hipcub17WarpLoadAlgorithmE1EdEvPT3_S3_.uses_flat_scratch, 0
	.set _Z16warp_load_kernelILj256ELj4ELj64ELN6hipcub17WarpLoadAlgorithmE1EdEvPT3_S3_.has_dyn_sized_stack, 0
	.set _Z16warp_load_kernelILj256ELj4ELj64ELN6hipcub17WarpLoadAlgorithmE1EdEvPT3_S3_.has_recursion, 0
	.set _Z16warp_load_kernelILj256ELj4ELj64ELN6hipcub17WarpLoadAlgorithmE1EdEvPT3_S3_.has_indirect_call, 0
	.section	.AMDGPU.csdata,"",@progbits
; Kernel info:
; codeLenInByte = 364
; TotalNumSgprs: 7
; NumVgprs: 17
; ScratchSize: 0
; MemoryBound: 0
; FloatMode: 240
; IeeeMode: 1
; LDSByteSize: 0 bytes/workgroup (compile time only)
; SGPRBlocks: 0
; VGPRBlocks: 2
; NumSGPRsForWavesPerEU: 7
; NumVGPRsForWavesPerEU: 17
; Occupancy: 16
; WaveLimiterHint : 1
; COMPUTE_PGM_RSRC2:SCRATCH_EN: 0
; COMPUTE_PGM_RSRC2:USER_SGPR: 2
; COMPUTE_PGM_RSRC2:TRAP_HANDLER: 0
; COMPUTE_PGM_RSRC2:TGID_X_EN: 1
; COMPUTE_PGM_RSRC2:TGID_Y_EN: 0
; COMPUTE_PGM_RSRC2:TGID_Z_EN: 0
; COMPUTE_PGM_RSRC2:TIDIG_COMP_CNT: 0
	.section	.text._Z16warp_load_kernelILj256ELj4ELj64ELN6hipcub17WarpLoadAlgorithmE2EdEvPT3_S3_,"axG",@progbits,_Z16warp_load_kernelILj256ELj4ELj64ELN6hipcub17WarpLoadAlgorithmE2EdEvPT3_S3_,comdat
	.protected	_Z16warp_load_kernelILj256ELj4ELj64ELN6hipcub17WarpLoadAlgorithmE2EdEvPT3_S3_ ; -- Begin function _Z16warp_load_kernelILj256ELj4ELj64ELN6hipcub17WarpLoadAlgorithmE2EdEvPT3_S3_
	.globl	_Z16warp_load_kernelILj256ELj4ELj64ELN6hipcub17WarpLoadAlgorithmE2EdEvPT3_S3_
	.p2align	8
	.type	_Z16warp_load_kernelILj256ELj4ELj64ELN6hipcub17WarpLoadAlgorithmE2EdEvPT3_S3_,@function
_Z16warp_load_kernelILj256ELj4ELj64ELN6hipcub17WarpLoadAlgorithmE2EdEvPT3_S3_: ; @_Z16warp_load_kernelILj256ELj4ELj64ELN6hipcub17WarpLoadAlgorithmE2EdEvPT3_S3_
; %bb.0:
	s_load_b128 s[0:3], s[0:1], 0x0
	v_dual_mov_b32 v10, 0 :: v_dual_lshlrev_b32 v1, 2, v0
	s_lshl_b32 s4, ttmp9, 10
	v_mbcnt_lo_u32_b32 v3, -1, 0
	s_delay_alu instid0(VALU_DEP_2) | instskip(NEXT) | instid1(VALU_DEP_3)
	v_and_or_b32 v9, 0x300, v1, s4
	v_mov_b32_e32 v12, v10
	s_delay_alu instid0(VALU_DEP_3) | instskip(NEXT) | instid1(VALU_DEP_3)
	v_dual_mov_b32 v14, v10 :: v_dual_lshlrev_b32 v3, 5, v3
	v_lshlrev_b64_e32 v[1:2], 3, v[9:10]
	v_or_b32_e32 v9, s4, v0
	s_delay_alu instid0(VALU_DEP_1) | instskip(SKIP_4) | instid1(VALU_DEP_1)
	v_or_b32_e32 v11, 0x100, v9
	v_or_b32_e32 v13, 0x200, v9
	v_lshlrev_b64_e32 v[15:16], 3, v[9:10]
	s_wait_kmcnt 0x0
	v_add_co_u32 v1, vcc_lo, s0, v1
	v_add_co_ci_u32_e64 v2, null, s1, v2, vcc_lo
	v_or_b32_e32 v9, 0x300, v9
	s_delay_alu instid0(VALU_DEP_3) | instskip(SKIP_1) | instid1(VALU_DEP_3)
	v_add_co_u32 v5, vcc_lo, v1, v3
	s_wait_alu 0xfffd
	v_add_co_ci_u32_e64 v6, null, 0, v2, vcc_lo
	v_lshlrev_b64_e32 v[11:12], 3, v[11:12]
	v_lshlrev_b64_e32 v[13:14], 3, v[13:14]
	;; [unrolled: 1-line block ×3, first 2 shown]
	s_clause 0x1
	global_load_b128 v[1:4], v[5:6], off
	global_load_b128 v[5:8], v[5:6], off offset:16
	v_add_co_u32 v15, vcc_lo, s2, v15
	s_wait_alu 0xfffd
	v_add_co_ci_u32_e64 v16, null, s3, v16, vcc_lo
	v_add_co_u32 v11, vcc_lo, s2, v11
	s_wait_alu 0xfffd
	v_add_co_ci_u32_e64 v12, null, s3, v12, vcc_lo
	;; [unrolled: 3-line block ×4, first 2 shown]
	s_wait_loadcnt 0x1
	s_clause 0x1
	global_store_b64 v[15:16], v[1:2], off
	global_store_b64 v[11:12], v[3:4], off
	s_wait_loadcnt 0x0
	s_clause 0x1
	global_store_b64 v[13:14], v[5:6], off
	global_store_b64 v[9:10], v[7:8], off
	s_endpgm
	.section	.rodata,"a",@progbits
	.p2align	6, 0x0
	.amdhsa_kernel _Z16warp_load_kernelILj256ELj4ELj64ELN6hipcub17WarpLoadAlgorithmE2EdEvPT3_S3_
		.amdhsa_group_segment_fixed_size 0
		.amdhsa_private_segment_fixed_size 0
		.amdhsa_kernarg_size 16
		.amdhsa_user_sgpr_count 2
		.amdhsa_user_sgpr_dispatch_ptr 0
		.amdhsa_user_sgpr_queue_ptr 0
		.amdhsa_user_sgpr_kernarg_segment_ptr 1
		.amdhsa_user_sgpr_dispatch_id 0
		.amdhsa_user_sgpr_private_segment_size 0
		.amdhsa_wavefront_size32 1
		.amdhsa_uses_dynamic_stack 0
		.amdhsa_enable_private_segment 0
		.amdhsa_system_sgpr_workgroup_id_x 1
		.amdhsa_system_sgpr_workgroup_id_y 0
		.amdhsa_system_sgpr_workgroup_id_z 0
		.amdhsa_system_sgpr_workgroup_info 0
		.amdhsa_system_vgpr_workitem_id 0
		.amdhsa_next_free_vgpr 17
		.amdhsa_next_free_sgpr 5
		.amdhsa_reserve_vcc 1
		.amdhsa_float_round_mode_32 0
		.amdhsa_float_round_mode_16_64 0
		.amdhsa_float_denorm_mode_32 3
		.amdhsa_float_denorm_mode_16_64 3
		.amdhsa_fp16_overflow 0
		.amdhsa_workgroup_processor_mode 1
		.amdhsa_memory_ordered 1
		.amdhsa_forward_progress 1
		.amdhsa_inst_pref_size 3
		.amdhsa_round_robin_scheduling 0
		.amdhsa_exception_fp_ieee_invalid_op 0
		.amdhsa_exception_fp_denorm_src 0
		.amdhsa_exception_fp_ieee_div_zero 0
		.amdhsa_exception_fp_ieee_overflow 0
		.amdhsa_exception_fp_ieee_underflow 0
		.amdhsa_exception_fp_ieee_inexact 0
		.amdhsa_exception_int_div_zero 0
	.end_amdhsa_kernel
	.section	.text._Z16warp_load_kernelILj256ELj4ELj64ELN6hipcub17WarpLoadAlgorithmE2EdEvPT3_S3_,"axG",@progbits,_Z16warp_load_kernelILj256ELj4ELj64ELN6hipcub17WarpLoadAlgorithmE2EdEvPT3_S3_,comdat
.Lfunc_end58:
	.size	_Z16warp_load_kernelILj256ELj4ELj64ELN6hipcub17WarpLoadAlgorithmE2EdEvPT3_S3_, .Lfunc_end58-_Z16warp_load_kernelILj256ELj4ELj64ELN6hipcub17WarpLoadAlgorithmE2EdEvPT3_S3_
                                        ; -- End function
	.set _Z16warp_load_kernelILj256ELj4ELj64ELN6hipcub17WarpLoadAlgorithmE2EdEvPT3_S3_.num_vgpr, 17
	.set _Z16warp_load_kernelILj256ELj4ELj64ELN6hipcub17WarpLoadAlgorithmE2EdEvPT3_S3_.num_agpr, 0
	.set _Z16warp_load_kernelILj256ELj4ELj64ELN6hipcub17WarpLoadAlgorithmE2EdEvPT3_S3_.numbered_sgpr, 5
	.set _Z16warp_load_kernelILj256ELj4ELj64ELN6hipcub17WarpLoadAlgorithmE2EdEvPT3_S3_.num_named_barrier, 0
	.set _Z16warp_load_kernelILj256ELj4ELj64ELN6hipcub17WarpLoadAlgorithmE2EdEvPT3_S3_.private_seg_size, 0
	.set _Z16warp_load_kernelILj256ELj4ELj64ELN6hipcub17WarpLoadAlgorithmE2EdEvPT3_S3_.uses_vcc, 1
	.set _Z16warp_load_kernelILj256ELj4ELj64ELN6hipcub17WarpLoadAlgorithmE2EdEvPT3_S3_.uses_flat_scratch, 0
	.set _Z16warp_load_kernelILj256ELj4ELj64ELN6hipcub17WarpLoadAlgorithmE2EdEvPT3_S3_.has_dyn_sized_stack, 0
	.set _Z16warp_load_kernelILj256ELj4ELj64ELN6hipcub17WarpLoadAlgorithmE2EdEvPT3_S3_.has_recursion, 0
	.set _Z16warp_load_kernelILj256ELj4ELj64ELN6hipcub17WarpLoadAlgorithmE2EdEvPT3_S3_.has_indirect_call, 0
	.section	.AMDGPU.csdata,"",@progbits
; Kernel info:
; codeLenInByte = 332
; TotalNumSgprs: 7
; NumVgprs: 17
; ScratchSize: 0
; MemoryBound: 0
; FloatMode: 240
; IeeeMode: 1
; LDSByteSize: 0 bytes/workgroup (compile time only)
; SGPRBlocks: 0
; VGPRBlocks: 2
; NumSGPRsForWavesPerEU: 7
; NumVGPRsForWavesPerEU: 17
; Occupancy: 16
; WaveLimiterHint : 0
; COMPUTE_PGM_RSRC2:SCRATCH_EN: 0
; COMPUTE_PGM_RSRC2:USER_SGPR: 2
; COMPUTE_PGM_RSRC2:TRAP_HANDLER: 0
; COMPUTE_PGM_RSRC2:TGID_X_EN: 1
; COMPUTE_PGM_RSRC2:TGID_Y_EN: 0
; COMPUTE_PGM_RSRC2:TGID_Z_EN: 0
; COMPUTE_PGM_RSRC2:TIDIG_COMP_CNT: 0
	.section	.text._Z16warp_load_kernelILj256ELj4ELj64ELN6hipcub17WarpLoadAlgorithmE3EdEvPT3_S3_,"axG",@progbits,_Z16warp_load_kernelILj256ELj4ELj64ELN6hipcub17WarpLoadAlgorithmE3EdEvPT3_S3_,comdat
	.protected	_Z16warp_load_kernelILj256ELj4ELj64ELN6hipcub17WarpLoadAlgorithmE3EdEvPT3_S3_ ; -- Begin function _Z16warp_load_kernelILj256ELj4ELj64ELN6hipcub17WarpLoadAlgorithmE3EdEvPT3_S3_
	.globl	_Z16warp_load_kernelILj256ELj4ELj64ELN6hipcub17WarpLoadAlgorithmE3EdEvPT3_S3_
	.p2align	8
	.type	_Z16warp_load_kernelILj256ELj4ELj64ELN6hipcub17WarpLoadAlgorithmE3EdEvPT3_S3_,@function
_Z16warp_load_kernelILj256ELj4ELj64ELN6hipcub17WarpLoadAlgorithmE3EdEvPT3_S3_: ; @_Z16warp_load_kernelILj256ELj4ELj64ELN6hipcub17WarpLoadAlgorithmE3EdEvPT3_S3_
; %bb.0:
	s_load_b128 s[0:3], s[0:1], 0x0
	v_lshrrev_b32_e32 v3, 6, v0
	s_lshl_b32 s4, ttmp9, 10
	v_mbcnt_lo_u32_b32 v16, -1, 0
	v_mov_b32_e32 v5, 0
	s_delay_alu instid0(VALU_DEP_3) | instskip(SKIP_1) | instid1(VALU_DEP_3)
	v_lshl_or_b32 v4, v3, 8, s4
	v_lshlrev_b32_e32 v3, 11, v3
	v_dual_mov_b32 v13, v5 :: v_dual_lshlrev_b32 v12, 3, v16
	v_mov_b32_e32 v15, v5
	s_delay_alu instid0(VALU_DEP_4) | instskip(SKIP_1) | instid1(VALU_DEP_4)
	v_lshlrev_b64_e32 v[1:2], 3, v[4:5]
	v_or_b32_e32 v4, s4, v0
	v_or_b32_e32 v0, v3, v12
	v_lshl_or_b32 v18, v16, 5, v3
	s_delay_alu instid0(VALU_DEP_3) | instskip(SKIP_3) | instid1(VALU_DEP_1)
	v_or_b32_e32 v14, 0x200, v4
	v_lshlrev_b64_e32 v[16:17], 3, v[4:5]
	s_wait_kmcnt 0x0
	v_add_co_u32 v1, vcc_lo, s0, v1
	v_add_co_ci_u32_e64 v2, null, s1, v2, vcc_lo
	v_lshlrev_b64_e32 v[14:15], 3, v[14:15]
	s_delay_alu instid0(VALU_DEP_3) | instskip(SKIP_1) | instid1(VALU_DEP_3)
	v_add_co_u32 v1, vcc_lo, v1, v12
	s_wait_alu 0xfffd
	v_add_co_ci_u32_e64 v2, null, 0, v2, vcc_lo
	v_or_b32_e32 v12, 0x100, v4
	v_or_b32_e32 v4, 0x300, v4
	s_clause 0x3
	global_load_b64 v[6:7], v[1:2], off
	global_load_b64 v[8:9], v[1:2], off offset:512
	global_load_b64 v[10:11], v[1:2], off offset:1024
	;; [unrolled: 1-line block ×3, first 2 shown]
	s_wait_loadcnt 0x2
	ds_store_2addr_stride64_b64 v0, v[6:7], v[8:9] offset1:1
	s_wait_loadcnt 0x0
	ds_store_2addr_stride64_b64 v0, v[10:11], v[1:2] offset0:2 offset1:3
	; wave barrier
	ds_load_b128 v[0:3], v18
	v_lshlrev_b64_e32 v[8:9], 3, v[4:5]
	ds_load_b128 v[4:7], v18 offset:16
	v_lshlrev_b64_e32 v[12:13], 3, v[12:13]
	v_add_co_u32 v10, vcc_lo, s2, v16
	s_wait_alu 0xfffd
	v_add_co_ci_u32_e64 v11, null, s3, v17, vcc_lo
	s_delay_alu instid0(VALU_DEP_3)
	v_add_co_u32 v12, vcc_lo, s2, v12
	s_wait_alu 0xfffd
	v_add_co_ci_u32_e64 v13, null, s3, v13, vcc_lo
	v_add_co_u32 v14, vcc_lo, s2, v14
	s_wait_alu 0xfffd
	v_add_co_ci_u32_e64 v15, null, s3, v15, vcc_lo
	;; [unrolled: 3-line block ×3, first 2 shown]
	s_wait_dscnt 0x1
	s_clause 0x1
	global_store_b64 v[10:11], v[0:1], off
	global_store_b64 v[12:13], v[2:3], off
	s_wait_dscnt 0x0
	s_clause 0x1
	global_store_b64 v[14:15], v[4:5], off
	global_store_b64 v[8:9], v[6:7], off
	s_endpgm
	.section	.rodata,"a",@progbits
	.p2align	6, 0x0
	.amdhsa_kernel _Z16warp_load_kernelILj256ELj4ELj64ELN6hipcub17WarpLoadAlgorithmE3EdEvPT3_S3_
		.amdhsa_group_segment_fixed_size 8192
		.amdhsa_private_segment_fixed_size 0
		.amdhsa_kernarg_size 16
		.amdhsa_user_sgpr_count 2
		.amdhsa_user_sgpr_dispatch_ptr 0
		.amdhsa_user_sgpr_queue_ptr 0
		.amdhsa_user_sgpr_kernarg_segment_ptr 1
		.amdhsa_user_sgpr_dispatch_id 0
		.amdhsa_user_sgpr_private_segment_size 0
		.amdhsa_wavefront_size32 1
		.amdhsa_uses_dynamic_stack 0
		.amdhsa_enable_private_segment 0
		.amdhsa_system_sgpr_workgroup_id_x 1
		.amdhsa_system_sgpr_workgroup_id_y 0
		.amdhsa_system_sgpr_workgroup_id_z 0
		.amdhsa_system_sgpr_workgroup_info 0
		.amdhsa_system_vgpr_workitem_id 0
		.amdhsa_next_free_vgpr 19
		.amdhsa_next_free_sgpr 5
		.amdhsa_reserve_vcc 1
		.amdhsa_float_round_mode_32 0
		.amdhsa_float_round_mode_16_64 0
		.amdhsa_float_denorm_mode_32 3
		.amdhsa_float_denorm_mode_16_64 3
		.amdhsa_fp16_overflow 0
		.amdhsa_workgroup_processor_mode 1
		.amdhsa_memory_ordered 1
		.amdhsa_forward_progress 1
		.amdhsa_inst_pref_size 4
		.amdhsa_round_robin_scheduling 0
		.amdhsa_exception_fp_ieee_invalid_op 0
		.amdhsa_exception_fp_denorm_src 0
		.amdhsa_exception_fp_ieee_div_zero 0
		.amdhsa_exception_fp_ieee_overflow 0
		.amdhsa_exception_fp_ieee_underflow 0
		.amdhsa_exception_fp_ieee_inexact 0
		.amdhsa_exception_int_div_zero 0
	.end_amdhsa_kernel
	.section	.text._Z16warp_load_kernelILj256ELj4ELj64ELN6hipcub17WarpLoadAlgorithmE3EdEvPT3_S3_,"axG",@progbits,_Z16warp_load_kernelILj256ELj4ELj64ELN6hipcub17WarpLoadAlgorithmE3EdEvPT3_S3_,comdat
.Lfunc_end59:
	.size	_Z16warp_load_kernelILj256ELj4ELj64ELN6hipcub17WarpLoadAlgorithmE3EdEvPT3_S3_, .Lfunc_end59-_Z16warp_load_kernelILj256ELj4ELj64ELN6hipcub17WarpLoadAlgorithmE3EdEvPT3_S3_
                                        ; -- End function
	.set _Z16warp_load_kernelILj256ELj4ELj64ELN6hipcub17WarpLoadAlgorithmE3EdEvPT3_S3_.num_vgpr, 19
	.set _Z16warp_load_kernelILj256ELj4ELj64ELN6hipcub17WarpLoadAlgorithmE3EdEvPT3_S3_.num_agpr, 0
	.set _Z16warp_load_kernelILj256ELj4ELj64ELN6hipcub17WarpLoadAlgorithmE3EdEvPT3_S3_.numbered_sgpr, 5
	.set _Z16warp_load_kernelILj256ELj4ELj64ELN6hipcub17WarpLoadAlgorithmE3EdEvPT3_S3_.num_named_barrier, 0
	.set _Z16warp_load_kernelILj256ELj4ELj64ELN6hipcub17WarpLoadAlgorithmE3EdEvPT3_S3_.private_seg_size, 0
	.set _Z16warp_load_kernelILj256ELj4ELj64ELN6hipcub17WarpLoadAlgorithmE3EdEvPT3_S3_.uses_vcc, 1
	.set _Z16warp_load_kernelILj256ELj4ELj64ELN6hipcub17WarpLoadAlgorithmE3EdEvPT3_S3_.uses_flat_scratch, 0
	.set _Z16warp_load_kernelILj256ELj4ELj64ELN6hipcub17WarpLoadAlgorithmE3EdEvPT3_S3_.has_dyn_sized_stack, 0
	.set _Z16warp_load_kernelILj256ELj4ELj64ELN6hipcub17WarpLoadAlgorithmE3EdEvPT3_S3_.has_recursion, 0
	.set _Z16warp_load_kernelILj256ELj4ELj64ELN6hipcub17WarpLoadAlgorithmE3EdEvPT3_S3_.has_indirect_call, 0
	.section	.AMDGPU.csdata,"",@progbits
; Kernel info:
; codeLenInByte = 412
; TotalNumSgprs: 7
; NumVgprs: 19
; ScratchSize: 0
; MemoryBound: 1
; FloatMode: 240
; IeeeMode: 1
; LDSByteSize: 8192 bytes/workgroup (compile time only)
; SGPRBlocks: 0
; VGPRBlocks: 2
; NumSGPRsForWavesPerEU: 7
; NumVGPRsForWavesPerEU: 19
; Occupancy: 16
; WaveLimiterHint : 1
; COMPUTE_PGM_RSRC2:SCRATCH_EN: 0
; COMPUTE_PGM_RSRC2:USER_SGPR: 2
; COMPUTE_PGM_RSRC2:TRAP_HANDLER: 0
; COMPUTE_PGM_RSRC2:TGID_X_EN: 1
; COMPUTE_PGM_RSRC2:TGID_Y_EN: 0
; COMPUTE_PGM_RSRC2:TGID_Z_EN: 0
; COMPUTE_PGM_RSRC2:TIDIG_COMP_CNT: 0
	.section	.text._Z16warp_load_kernelILj256ELj8ELj64ELN6hipcub17WarpLoadAlgorithmE0EdEvPT3_S3_,"axG",@progbits,_Z16warp_load_kernelILj256ELj8ELj64ELN6hipcub17WarpLoadAlgorithmE0EdEvPT3_S3_,comdat
	.protected	_Z16warp_load_kernelILj256ELj8ELj64ELN6hipcub17WarpLoadAlgorithmE0EdEvPT3_S3_ ; -- Begin function _Z16warp_load_kernelILj256ELj8ELj64ELN6hipcub17WarpLoadAlgorithmE0EdEvPT3_S3_
	.globl	_Z16warp_load_kernelILj256ELj8ELj64ELN6hipcub17WarpLoadAlgorithmE0EdEvPT3_S3_
	.p2align	8
	.type	_Z16warp_load_kernelILj256ELj8ELj64ELN6hipcub17WarpLoadAlgorithmE0EdEvPT3_S3_,@function
_Z16warp_load_kernelILj256ELj8ELj64ELN6hipcub17WarpLoadAlgorithmE0EdEvPT3_S3_: ; @_Z16warp_load_kernelILj256ELj8ELj64ELN6hipcub17WarpLoadAlgorithmE0EdEvPT3_S3_
; %bb.0:
	s_load_b128 s[0:3], s[0:1], 0x0
	v_dual_mov_b32 v18, 0 :: v_dual_lshlrev_b32 v1, 3, v0
	s_lshl_b32 s4, ttmp9, 11
	v_mbcnt_lo_u32_b32 v3, -1, 0
	s_delay_alu instid0(VALU_DEP_2) | instskip(NEXT) | instid1(VALU_DEP_3)
	v_and_or_b32 v17, 0x600, v1, s4
	v_mov_b32_e32 v20, v18
	s_delay_alu instid0(VALU_DEP_3) | instskip(NEXT) | instid1(VALU_DEP_3)
	v_dual_mov_b32 v22, v18 :: v_dual_lshlrev_b32 v3, 6, v3
	v_lshlrev_b64_e32 v[1:2], 3, v[17:18]
	v_or_b32_e32 v17, s4, v0
	s_delay_alu instid0(VALU_DEP_1) | instskip(SKIP_4) | instid1(VALU_DEP_1)
	v_or_b32_e32 v19, 0x500, v17
	v_or_b32_e32 v21, 0x600, v17
	v_lshlrev_b64_e32 v[23:24], 3, v[17:18]
	s_wait_kmcnt 0x0
	v_add_co_u32 v1, vcc_lo, s0, v1
	v_add_co_ci_u32_e64 v2, null, s1, v2, vcc_lo
	v_or_b32_e32 v17, 0x700, v17
	s_delay_alu instid0(VALU_DEP_3) | instskip(SKIP_1) | instid1(VALU_DEP_3)
	v_add_co_u32 v13, vcc_lo, v1, v3
	s_wait_alu 0xfffd
	v_add_co_ci_u32_e64 v14, null, 0, v2, vcc_lo
	v_lshlrev_b64_e32 v[19:20], 3, v[19:20]
	v_lshlrev_b64_e32 v[21:22], 3, v[21:22]
	;; [unrolled: 1-line block ×3, first 2 shown]
	s_clause 0x3
	global_load_b128 v[1:4], v[13:14], off
	global_load_b128 v[5:8], v[13:14], off offset:16
	global_load_b128 v[9:12], v[13:14], off offset:32
	;; [unrolled: 1-line block ×3, first 2 shown]
	v_add_co_u32 v23, vcc_lo, s2, v23
	s_wait_alu 0xfffd
	v_add_co_ci_u32_e64 v24, null, s3, v24, vcc_lo
	v_add_co_u32 v19, vcc_lo, s2, v19
	s_wait_alu 0xfffd
	v_add_co_ci_u32_e64 v20, null, s3, v20, vcc_lo
	;; [unrolled: 3-line block ×4, first 2 shown]
	s_wait_loadcnt 0x3
	s_clause 0x1
	global_store_b64 v[23:24], v[1:2], off
	global_store_b64 v[23:24], v[3:4], off offset:2048
	s_wait_loadcnt 0x2
	s_clause 0x1
	global_store_b64 v[23:24], v[5:6], off offset:4096
	global_store_b64 v[23:24], v[7:8], off offset:6144
	s_wait_loadcnt 0x1
	s_clause 0x1
	global_store_b64 v[23:24], v[9:10], off offset:8192
	global_store_b64 v[19:20], v[11:12], off
	s_wait_loadcnt 0x0
	s_clause 0x1
	global_store_b64 v[21:22], v[13:14], off
	global_store_b64 v[17:18], v[15:16], off
	s_endpgm
	.section	.rodata,"a",@progbits
	.p2align	6, 0x0
	.amdhsa_kernel _Z16warp_load_kernelILj256ELj8ELj64ELN6hipcub17WarpLoadAlgorithmE0EdEvPT3_S3_
		.amdhsa_group_segment_fixed_size 0
		.amdhsa_private_segment_fixed_size 0
		.amdhsa_kernarg_size 16
		.amdhsa_user_sgpr_count 2
		.amdhsa_user_sgpr_dispatch_ptr 0
		.amdhsa_user_sgpr_queue_ptr 0
		.amdhsa_user_sgpr_kernarg_segment_ptr 1
		.amdhsa_user_sgpr_dispatch_id 0
		.amdhsa_user_sgpr_private_segment_size 0
		.amdhsa_wavefront_size32 1
		.amdhsa_uses_dynamic_stack 0
		.amdhsa_enable_private_segment 0
		.amdhsa_system_sgpr_workgroup_id_x 1
		.amdhsa_system_sgpr_workgroup_id_y 0
		.amdhsa_system_sgpr_workgroup_id_z 0
		.amdhsa_system_sgpr_workgroup_info 0
		.amdhsa_system_vgpr_workitem_id 0
		.amdhsa_next_free_vgpr 25
		.amdhsa_next_free_sgpr 5
		.amdhsa_reserve_vcc 1
		.amdhsa_float_round_mode_32 0
		.amdhsa_float_round_mode_16_64 0
		.amdhsa_float_denorm_mode_32 3
		.amdhsa_float_denorm_mode_16_64 3
		.amdhsa_fp16_overflow 0
		.amdhsa_workgroup_processor_mode 1
		.amdhsa_memory_ordered 1
		.amdhsa_forward_progress 1
		.amdhsa_inst_pref_size 4
		.amdhsa_round_robin_scheduling 0
		.amdhsa_exception_fp_ieee_invalid_op 0
		.amdhsa_exception_fp_denorm_src 0
		.amdhsa_exception_fp_ieee_div_zero 0
		.amdhsa_exception_fp_ieee_overflow 0
		.amdhsa_exception_fp_ieee_underflow 0
		.amdhsa_exception_fp_ieee_inexact 0
		.amdhsa_exception_int_div_zero 0
	.end_amdhsa_kernel
	.section	.text._Z16warp_load_kernelILj256ELj8ELj64ELN6hipcub17WarpLoadAlgorithmE0EdEvPT3_S3_,"axG",@progbits,_Z16warp_load_kernelILj256ELj8ELj64ELN6hipcub17WarpLoadAlgorithmE0EdEvPT3_S3_,comdat
.Lfunc_end60:
	.size	_Z16warp_load_kernelILj256ELj8ELj64ELN6hipcub17WarpLoadAlgorithmE0EdEvPT3_S3_, .Lfunc_end60-_Z16warp_load_kernelILj256ELj8ELj64ELN6hipcub17WarpLoadAlgorithmE0EdEvPT3_S3_
                                        ; -- End function
	.set _Z16warp_load_kernelILj256ELj8ELj64ELN6hipcub17WarpLoadAlgorithmE0EdEvPT3_S3_.num_vgpr, 25
	.set _Z16warp_load_kernelILj256ELj8ELj64ELN6hipcub17WarpLoadAlgorithmE0EdEvPT3_S3_.num_agpr, 0
	.set _Z16warp_load_kernelILj256ELj8ELj64ELN6hipcub17WarpLoadAlgorithmE0EdEvPT3_S3_.numbered_sgpr, 5
	.set _Z16warp_load_kernelILj256ELj8ELj64ELN6hipcub17WarpLoadAlgorithmE0EdEvPT3_S3_.num_named_barrier, 0
	.set _Z16warp_load_kernelILj256ELj8ELj64ELN6hipcub17WarpLoadAlgorithmE0EdEvPT3_S3_.private_seg_size, 0
	.set _Z16warp_load_kernelILj256ELj8ELj64ELN6hipcub17WarpLoadAlgorithmE0EdEvPT3_S3_.uses_vcc, 1
	.set _Z16warp_load_kernelILj256ELj8ELj64ELN6hipcub17WarpLoadAlgorithmE0EdEvPT3_S3_.uses_flat_scratch, 0
	.set _Z16warp_load_kernelILj256ELj8ELj64ELN6hipcub17WarpLoadAlgorithmE0EdEvPT3_S3_.has_dyn_sized_stack, 0
	.set _Z16warp_load_kernelILj256ELj8ELj64ELN6hipcub17WarpLoadAlgorithmE0EdEvPT3_S3_.has_recursion, 0
	.set _Z16warp_load_kernelILj256ELj8ELj64ELN6hipcub17WarpLoadAlgorithmE0EdEvPT3_S3_.has_indirect_call, 0
	.section	.AMDGPU.csdata,"",@progbits
; Kernel info:
; codeLenInByte = 420
; TotalNumSgprs: 7
; NumVgprs: 25
; ScratchSize: 0
; MemoryBound: 1
; FloatMode: 240
; IeeeMode: 1
; LDSByteSize: 0 bytes/workgroup (compile time only)
; SGPRBlocks: 0
; VGPRBlocks: 3
; NumSGPRsForWavesPerEU: 7
; NumVGPRsForWavesPerEU: 25
; Occupancy: 16
; WaveLimiterHint : 1
; COMPUTE_PGM_RSRC2:SCRATCH_EN: 0
; COMPUTE_PGM_RSRC2:USER_SGPR: 2
; COMPUTE_PGM_RSRC2:TRAP_HANDLER: 0
; COMPUTE_PGM_RSRC2:TGID_X_EN: 1
; COMPUTE_PGM_RSRC2:TGID_Y_EN: 0
; COMPUTE_PGM_RSRC2:TGID_Z_EN: 0
; COMPUTE_PGM_RSRC2:TIDIG_COMP_CNT: 0
	.section	.text._Z16warp_load_kernelILj256ELj8ELj64ELN6hipcub17WarpLoadAlgorithmE1EdEvPT3_S3_,"axG",@progbits,_Z16warp_load_kernelILj256ELj8ELj64ELN6hipcub17WarpLoadAlgorithmE1EdEvPT3_S3_,comdat
	.protected	_Z16warp_load_kernelILj256ELj8ELj64ELN6hipcub17WarpLoadAlgorithmE1EdEvPT3_S3_ ; -- Begin function _Z16warp_load_kernelILj256ELj8ELj64ELN6hipcub17WarpLoadAlgorithmE1EdEvPT3_S3_
	.globl	_Z16warp_load_kernelILj256ELj8ELj64ELN6hipcub17WarpLoadAlgorithmE1EdEvPT3_S3_
	.p2align	8
	.type	_Z16warp_load_kernelILj256ELj8ELj64ELN6hipcub17WarpLoadAlgorithmE1EdEvPT3_S3_,@function
_Z16warp_load_kernelILj256ELj8ELj64ELN6hipcub17WarpLoadAlgorithmE1EdEvPT3_S3_: ; @_Z16warp_load_kernelILj256ELj8ELj64ELN6hipcub17WarpLoadAlgorithmE1EdEvPT3_S3_
; %bb.0:
	s_load_b128 s[0:3], s[0:1], 0x0
	v_dual_mov_b32 v2, 0 :: v_dual_lshlrev_b32 v1, 3, v0
	s_lshl_b32 s4, ttmp9, 11
	v_mbcnt_lo_u32_b32 v5, -1, 0
	s_delay_alu instid0(VALU_DEP_2) | instskip(NEXT) | instid1(VALU_DEP_3)
	v_and_or_b32 v1, 0x600, v1, s4
	v_mov_b32_e32 v22, v2
	v_mov_b32_e32 v20, v2
	s_delay_alu instid0(VALU_DEP_3) | instskip(SKIP_2) | instid1(VALU_DEP_2)
	v_lshlrev_b64_e32 v[3:4], 3, v[1:2]
	v_lshlrev_b32_e32 v1, 3, v5
	s_wait_kmcnt 0x0
	v_add_co_u32 v3, vcc_lo, s0, v3
	s_delay_alu instid0(VALU_DEP_1) | instskip(NEXT) | instid1(VALU_DEP_2)
	v_add_co_ci_u32_e64 v4, null, s1, v4, vcc_lo
	v_add_co_u32 v3, vcc_lo, v3, v1
	s_wait_alu 0xfffd
	s_delay_alu instid0(VALU_DEP_2)
	v_add_co_ci_u32_e64 v4, null, 0, v4, vcc_lo
	v_or_b32_e32 v1, s4, v0
	s_clause 0x7
	global_load_b64 v[5:6], v[3:4], off
	global_load_b64 v[7:8], v[3:4], off offset:512
	global_load_b64 v[9:10], v[3:4], off offset:1024
	;; [unrolled: 1-line block ×7, first 2 shown]
	v_or_b32_e32 v19, 0x500, v1
	v_or_b32_e32 v21, 0x600, v1
	v_lshlrev_b64_e32 v[23:24], 3, v[1:2]
	v_or_b32_e32 v1, 0x700, v1
	s_delay_alu instid0(VALU_DEP_4) | instskip(NEXT) | instid1(VALU_DEP_4)
	v_lshlrev_b64_e32 v[19:20], 3, v[19:20]
	v_lshlrev_b64_e32 v[21:22], 3, v[21:22]
	s_delay_alu instid0(VALU_DEP_3)
	v_lshlrev_b64_e32 v[0:1], 3, v[1:2]
	v_add_co_u32 v23, vcc_lo, s2, v23
	s_wait_alu 0xfffd
	v_add_co_ci_u32_e64 v24, null, s3, v24, vcc_lo
	v_add_co_u32 v19, vcc_lo, s2, v19
	s_wait_alu 0xfffd
	v_add_co_ci_u32_e64 v20, null, s3, v20, vcc_lo
	;; [unrolled: 3-line block ×4, first 2 shown]
	s_wait_loadcnt 0x7
	global_store_b64 v[23:24], v[5:6], off
	s_wait_loadcnt 0x6
	global_store_b64 v[23:24], v[7:8], off offset:2048
	s_wait_loadcnt 0x5
	global_store_b64 v[23:24], v[9:10], off offset:4096
	;; [unrolled: 2-line block ×4, first 2 shown]
	s_wait_loadcnt 0x2
	global_store_b64 v[19:20], v[15:16], off
	s_wait_loadcnt 0x1
	global_store_b64 v[21:22], v[17:18], off
	;; [unrolled: 2-line block ×3, first 2 shown]
	s_endpgm
	.section	.rodata,"a",@progbits
	.p2align	6, 0x0
	.amdhsa_kernel _Z16warp_load_kernelILj256ELj8ELj64ELN6hipcub17WarpLoadAlgorithmE1EdEvPT3_S3_
		.amdhsa_group_segment_fixed_size 0
		.amdhsa_private_segment_fixed_size 0
		.amdhsa_kernarg_size 16
		.amdhsa_user_sgpr_count 2
		.amdhsa_user_sgpr_dispatch_ptr 0
		.amdhsa_user_sgpr_queue_ptr 0
		.amdhsa_user_sgpr_kernarg_segment_ptr 1
		.amdhsa_user_sgpr_dispatch_id 0
		.amdhsa_user_sgpr_private_segment_size 0
		.amdhsa_wavefront_size32 1
		.amdhsa_uses_dynamic_stack 0
		.amdhsa_enable_private_segment 0
		.amdhsa_system_sgpr_workgroup_id_x 1
		.amdhsa_system_sgpr_workgroup_id_y 0
		.amdhsa_system_sgpr_workgroup_id_z 0
		.amdhsa_system_sgpr_workgroup_info 0
		.amdhsa_system_vgpr_workitem_id 0
		.amdhsa_next_free_vgpr 25
		.amdhsa_next_free_sgpr 5
		.amdhsa_reserve_vcc 1
		.amdhsa_float_round_mode_32 0
		.amdhsa_float_round_mode_16_64 0
		.amdhsa_float_denorm_mode_32 3
		.amdhsa_float_denorm_mode_16_64 3
		.amdhsa_fp16_overflow 0
		.amdhsa_workgroup_processor_mode 1
		.amdhsa_memory_ordered 1
		.amdhsa_forward_progress 1
		.amdhsa_inst_pref_size 4
		.amdhsa_round_robin_scheduling 0
		.amdhsa_exception_fp_ieee_invalid_op 0
		.amdhsa_exception_fp_denorm_src 0
		.amdhsa_exception_fp_ieee_div_zero 0
		.amdhsa_exception_fp_ieee_overflow 0
		.amdhsa_exception_fp_ieee_underflow 0
		.amdhsa_exception_fp_ieee_inexact 0
		.amdhsa_exception_int_div_zero 0
	.end_amdhsa_kernel
	.section	.text._Z16warp_load_kernelILj256ELj8ELj64ELN6hipcub17WarpLoadAlgorithmE1EdEvPT3_S3_,"axG",@progbits,_Z16warp_load_kernelILj256ELj8ELj64ELN6hipcub17WarpLoadAlgorithmE1EdEvPT3_S3_,comdat
.Lfunc_end61:
	.size	_Z16warp_load_kernelILj256ELj8ELj64ELN6hipcub17WarpLoadAlgorithmE1EdEvPT3_S3_, .Lfunc_end61-_Z16warp_load_kernelILj256ELj8ELj64ELN6hipcub17WarpLoadAlgorithmE1EdEvPT3_S3_
                                        ; -- End function
	.set _Z16warp_load_kernelILj256ELj8ELj64ELN6hipcub17WarpLoadAlgorithmE1EdEvPT3_S3_.num_vgpr, 25
	.set _Z16warp_load_kernelILj256ELj8ELj64ELN6hipcub17WarpLoadAlgorithmE1EdEvPT3_S3_.num_agpr, 0
	.set _Z16warp_load_kernelILj256ELj8ELj64ELN6hipcub17WarpLoadAlgorithmE1EdEvPT3_S3_.numbered_sgpr, 5
	.set _Z16warp_load_kernelILj256ELj8ELj64ELN6hipcub17WarpLoadAlgorithmE1EdEvPT3_S3_.num_named_barrier, 0
	.set _Z16warp_load_kernelILj256ELj8ELj64ELN6hipcub17WarpLoadAlgorithmE1EdEvPT3_S3_.private_seg_size, 0
	.set _Z16warp_load_kernelILj256ELj8ELj64ELN6hipcub17WarpLoadAlgorithmE1EdEvPT3_S3_.uses_vcc, 1
	.set _Z16warp_load_kernelILj256ELj8ELj64ELN6hipcub17WarpLoadAlgorithmE1EdEvPT3_S3_.uses_flat_scratch, 0
	.set _Z16warp_load_kernelILj256ELj8ELj64ELN6hipcub17WarpLoadAlgorithmE1EdEvPT3_S3_.has_dyn_sized_stack, 0
	.set _Z16warp_load_kernelILj256ELj8ELj64ELN6hipcub17WarpLoadAlgorithmE1EdEvPT3_S3_.has_recursion, 0
	.set _Z16warp_load_kernelILj256ELj8ELj64ELN6hipcub17WarpLoadAlgorithmE1EdEvPT3_S3_.has_indirect_call, 0
	.section	.AMDGPU.csdata,"",@progbits
; Kernel info:
; codeLenInByte = 476
; TotalNumSgprs: 7
; NumVgprs: 25
; ScratchSize: 0
; MemoryBound: 1
; FloatMode: 240
; IeeeMode: 1
; LDSByteSize: 0 bytes/workgroup (compile time only)
; SGPRBlocks: 0
; VGPRBlocks: 3
; NumSGPRsForWavesPerEU: 7
; NumVGPRsForWavesPerEU: 25
; Occupancy: 16
; WaveLimiterHint : 1
; COMPUTE_PGM_RSRC2:SCRATCH_EN: 0
; COMPUTE_PGM_RSRC2:USER_SGPR: 2
; COMPUTE_PGM_RSRC2:TRAP_HANDLER: 0
; COMPUTE_PGM_RSRC2:TGID_X_EN: 1
; COMPUTE_PGM_RSRC2:TGID_Y_EN: 0
; COMPUTE_PGM_RSRC2:TGID_Z_EN: 0
; COMPUTE_PGM_RSRC2:TIDIG_COMP_CNT: 0
	.section	.text._Z16warp_load_kernelILj256ELj8ELj64ELN6hipcub17WarpLoadAlgorithmE2EdEvPT3_S3_,"axG",@progbits,_Z16warp_load_kernelILj256ELj8ELj64ELN6hipcub17WarpLoadAlgorithmE2EdEvPT3_S3_,comdat
	.protected	_Z16warp_load_kernelILj256ELj8ELj64ELN6hipcub17WarpLoadAlgorithmE2EdEvPT3_S3_ ; -- Begin function _Z16warp_load_kernelILj256ELj8ELj64ELN6hipcub17WarpLoadAlgorithmE2EdEvPT3_S3_
	.globl	_Z16warp_load_kernelILj256ELj8ELj64ELN6hipcub17WarpLoadAlgorithmE2EdEvPT3_S3_
	.p2align	8
	.type	_Z16warp_load_kernelILj256ELj8ELj64ELN6hipcub17WarpLoadAlgorithmE2EdEvPT3_S3_,@function
_Z16warp_load_kernelILj256ELj8ELj64ELN6hipcub17WarpLoadAlgorithmE2EdEvPT3_S3_: ; @_Z16warp_load_kernelILj256ELj8ELj64ELN6hipcub17WarpLoadAlgorithmE2EdEvPT3_S3_
; %bb.0:
	s_load_b128 s[0:3], s[0:1], 0x0
	v_dual_mov_b32 v18, 0 :: v_dual_lshlrev_b32 v1, 3, v0
	s_lshl_b32 s4, ttmp9, 11
	v_mbcnt_lo_u32_b32 v3, -1, 0
	s_delay_alu instid0(VALU_DEP_2) | instskip(NEXT) | instid1(VALU_DEP_3)
	v_and_or_b32 v17, 0x600, v1, s4
	v_mov_b32_e32 v20, v18
	s_delay_alu instid0(VALU_DEP_3) | instskip(NEXT) | instid1(VALU_DEP_3)
	v_dual_mov_b32 v22, v18 :: v_dual_lshlrev_b32 v3, 6, v3
	v_lshlrev_b64_e32 v[1:2], 3, v[17:18]
	v_or_b32_e32 v17, s4, v0
	s_delay_alu instid0(VALU_DEP_1) | instskip(SKIP_4) | instid1(VALU_DEP_1)
	v_or_b32_e32 v19, 0x500, v17
	v_or_b32_e32 v21, 0x600, v17
	v_lshlrev_b64_e32 v[23:24], 3, v[17:18]
	s_wait_kmcnt 0x0
	v_add_co_u32 v1, vcc_lo, s0, v1
	v_add_co_ci_u32_e64 v2, null, s1, v2, vcc_lo
	v_or_b32_e32 v17, 0x700, v17
	s_delay_alu instid0(VALU_DEP_3) | instskip(SKIP_1) | instid1(VALU_DEP_3)
	v_add_co_u32 v13, vcc_lo, v1, v3
	s_wait_alu 0xfffd
	v_add_co_ci_u32_e64 v14, null, 0, v2, vcc_lo
	v_lshlrev_b64_e32 v[19:20], 3, v[19:20]
	v_lshlrev_b64_e32 v[21:22], 3, v[21:22]
	;; [unrolled: 1-line block ×3, first 2 shown]
	s_clause 0x3
	global_load_b128 v[1:4], v[13:14], off
	global_load_b128 v[5:8], v[13:14], off offset:16
	global_load_b128 v[9:12], v[13:14], off offset:32
	;; [unrolled: 1-line block ×3, first 2 shown]
	v_add_co_u32 v23, vcc_lo, s2, v23
	s_wait_alu 0xfffd
	v_add_co_ci_u32_e64 v24, null, s3, v24, vcc_lo
	v_add_co_u32 v19, vcc_lo, s2, v19
	s_wait_alu 0xfffd
	v_add_co_ci_u32_e64 v20, null, s3, v20, vcc_lo
	v_add_co_u32 v21, vcc_lo, s2, v21
	s_wait_alu 0xfffd
	v_add_co_ci_u32_e64 v22, null, s3, v22, vcc_lo
	v_add_co_u32 v17, vcc_lo, s2, v17
	s_wait_alu 0xfffd
	v_add_co_ci_u32_e64 v18, null, s3, v18, vcc_lo
	s_wait_loadcnt 0x3
	s_clause 0x1
	global_store_b64 v[23:24], v[1:2], off
	global_store_b64 v[23:24], v[3:4], off offset:2048
	s_wait_loadcnt 0x2
	s_clause 0x1
	global_store_b64 v[23:24], v[5:6], off offset:4096
	global_store_b64 v[23:24], v[7:8], off offset:6144
	s_wait_loadcnt 0x1
	s_clause 0x1
	global_store_b64 v[23:24], v[9:10], off offset:8192
	global_store_b64 v[19:20], v[11:12], off
	s_wait_loadcnt 0x0
	s_clause 0x1
	global_store_b64 v[21:22], v[13:14], off
	global_store_b64 v[17:18], v[15:16], off
	s_endpgm
	.section	.rodata,"a",@progbits
	.p2align	6, 0x0
	.amdhsa_kernel _Z16warp_load_kernelILj256ELj8ELj64ELN6hipcub17WarpLoadAlgorithmE2EdEvPT3_S3_
		.amdhsa_group_segment_fixed_size 0
		.amdhsa_private_segment_fixed_size 0
		.amdhsa_kernarg_size 16
		.amdhsa_user_sgpr_count 2
		.amdhsa_user_sgpr_dispatch_ptr 0
		.amdhsa_user_sgpr_queue_ptr 0
		.amdhsa_user_sgpr_kernarg_segment_ptr 1
		.amdhsa_user_sgpr_dispatch_id 0
		.amdhsa_user_sgpr_private_segment_size 0
		.amdhsa_wavefront_size32 1
		.amdhsa_uses_dynamic_stack 0
		.amdhsa_enable_private_segment 0
		.amdhsa_system_sgpr_workgroup_id_x 1
		.amdhsa_system_sgpr_workgroup_id_y 0
		.amdhsa_system_sgpr_workgroup_id_z 0
		.amdhsa_system_sgpr_workgroup_info 0
		.amdhsa_system_vgpr_workitem_id 0
		.amdhsa_next_free_vgpr 25
		.amdhsa_next_free_sgpr 5
		.amdhsa_reserve_vcc 1
		.amdhsa_float_round_mode_32 0
		.amdhsa_float_round_mode_16_64 0
		.amdhsa_float_denorm_mode_32 3
		.amdhsa_float_denorm_mode_16_64 3
		.amdhsa_fp16_overflow 0
		.amdhsa_workgroup_processor_mode 1
		.amdhsa_memory_ordered 1
		.amdhsa_forward_progress 1
		.amdhsa_inst_pref_size 4
		.amdhsa_round_robin_scheduling 0
		.amdhsa_exception_fp_ieee_invalid_op 0
		.amdhsa_exception_fp_denorm_src 0
		.amdhsa_exception_fp_ieee_div_zero 0
		.amdhsa_exception_fp_ieee_overflow 0
		.amdhsa_exception_fp_ieee_underflow 0
		.amdhsa_exception_fp_ieee_inexact 0
		.amdhsa_exception_int_div_zero 0
	.end_amdhsa_kernel
	.section	.text._Z16warp_load_kernelILj256ELj8ELj64ELN6hipcub17WarpLoadAlgorithmE2EdEvPT3_S3_,"axG",@progbits,_Z16warp_load_kernelILj256ELj8ELj64ELN6hipcub17WarpLoadAlgorithmE2EdEvPT3_S3_,comdat
.Lfunc_end62:
	.size	_Z16warp_load_kernelILj256ELj8ELj64ELN6hipcub17WarpLoadAlgorithmE2EdEvPT3_S3_, .Lfunc_end62-_Z16warp_load_kernelILj256ELj8ELj64ELN6hipcub17WarpLoadAlgorithmE2EdEvPT3_S3_
                                        ; -- End function
	.set _Z16warp_load_kernelILj256ELj8ELj64ELN6hipcub17WarpLoadAlgorithmE2EdEvPT3_S3_.num_vgpr, 25
	.set _Z16warp_load_kernelILj256ELj8ELj64ELN6hipcub17WarpLoadAlgorithmE2EdEvPT3_S3_.num_agpr, 0
	.set _Z16warp_load_kernelILj256ELj8ELj64ELN6hipcub17WarpLoadAlgorithmE2EdEvPT3_S3_.numbered_sgpr, 5
	.set _Z16warp_load_kernelILj256ELj8ELj64ELN6hipcub17WarpLoadAlgorithmE2EdEvPT3_S3_.num_named_barrier, 0
	.set _Z16warp_load_kernelILj256ELj8ELj64ELN6hipcub17WarpLoadAlgorithmE2EdEvPT3_S3_.private_seg_size, 0
	.set _Z16warp_load_kernelILj256ELj8ELj64ELN6hipcub17WarpLoadAlgorithmE2EdEvPT3_S3_.uses_vcc, 1
	.set _Z16warp_load_kernelILj256ELj8ELj64ELN6hipcub17WarpLoadAlgorithmE2EdEvPT3_S3_.uses_flat_scratch, 0
	.set _Z16warp_load_kernelILj256ELj8ELj64ELN6hipcub17WarpLoadAlgorithmE2EdEvPT3_S3_.has_dyn_sized_stack, 0
	.set _Z16warp_load_kernelILj256ELj8ELj64ELN6hipcub17WarpLoadAlgorithmE2EdEvPT3_S3_.has_recursion, 0
	.set _Z16warp_load_kernelILj256ELj8ELj64ELN6hipcub17WarpLoadAlgorithmE2EdEvPT3_S3_.has_indirect_call, 0
	.section	.AMDGPU.csdata,"",@progbits
; Kernel info:
; codeLenInByte = 420
; TotalNumSgprs: 7
; NumVgprs: 25
; ScratchSize: 0
; MemoryBound: 1
; FloatMode: 240
; IeeeMode: 1
; LDSByteSize: 0 bytes/workgroup (compile time only)
; SGPRBlocks: 0
; VGPRBlocks: 3
; NumSGPRsForWavesPerEU: 7
; NumVGPRsForWavesPerEU: 25
; Occupancy: 16
; WaveLimiterHint : 1
; COMPUTE_PGM_RSRC2:SCRATCH_EN: 0
; COMPUTE_PGM_RSRC2:USER_SGPR: 2
; COMPUTE_PGM_RSRC2:TRAP_HANDLER: 0
; COMPUTE_PGM_RSRC2:TGID_X_EN: 1
; COMPUTE_PGM_RSRC2:TGID_Y_EN: 0
; COMPUTE_PGM_RSRC2:TGID_Z_EN: 0
; COMPUTE_PGM_RSRC2:TIDIG_COMP_CNT: 0
	.section	.text._Z16warp_load_kernelILj256ELj8ELj64ELN6hipcub17WarpLoadAlgorithmE3EdEvPT3_S3_,"axG",@progbits,_Z16warp_load_kernelILj256ELj8ELj64ELN6hipcub17WarpLoadAlgorithmE3EdEvPT3_S3_,comdat
	.protected	_Z16warp_load_kernelILj256ELj8ELj64ELN6hipcub17WarpLoadAlgorithmE3EdEvPT3_S3_ ; -- Begin function _Z16warp_load_kernelILj256ELj8ELj64ELN6hipcub17WarpLoadAlgorithmE3EdEvPT3_S3_
	.globl	_Z16warp_load_kernelILj256ELj8ELj64ELN6hipcub17WarpLoadAlgorithmE3EdEvPT3_S3_
	.p2align	8
	.type	_Z16warp_load_kernelILj256ELj8ELj64ELN6hipcub17WarpLoadAlgorithmE3EdEvPT3_S3_,@function
_Z16warp_load_kernelILj256ELj8ELj64ELN6hipcub17WarpLoadAlgorithmE3EdEvPT3_S3_: ; @_Z16warp_load_kernelILj256ELj8ELj64ELN6hipcub17WarpLoadAlgorithmE3EdEvPT3_S3_
; %bb.0:
	s_load_b128 s[0:3], s[0:1], 0x0
	v_lshrrev_b32_e32 v19, 6, v0
	s_lshl_b32 s4, ttmp9, 11
	v_mov_b32_e32 v2, 0
	v_mbcnt_lo_u32_b32 v25, -1, 0
	s_delay_alu instid0(VALU_DEP_3) | instskip(NEXT) | instid1(VALU_DEP_3)
	v_lshl_or_b32 v1, v19, 9, s4
	v_mov_b32_e32 v20, v2
	s_delay_alu instid0(VALU_DEP_3) | instskip(SKIP_1) | instid1(VALU_DEP_4)
	v_lshlrev_b32_e32 v26, 3, v25
	v_mov_b32_e32 v22, v2
	v_lshlrev_b64_e32 v[3:4], 3, v[1:2]
	s_wait_kmcnt 0x0
	s_delay_alu instid0(VALU_DEP_1) | instskip(NEXT) | instid1(VALU_DEP_1)
	v_add_co_u32 v1, vcc_lo, s0, v3
	v_add_co_ci_u32_e64 v4, null, s1, v4, vcc_lo
	s_delay_alu instid0(VALU_DEP_2) | instskip(SKIP_1) | instid1(VALU_DEP_2)
	v_add_co_u32 v3, vcc_lo, v1, v26
	s_wait_alu 0xfffd
	v_add_co_ci_u32_e64 v4, null, 0, v4, vcc_lo
	v_or_b32_e32 v1, s4, v0
	v_lshlrev_b32_e32 v0, 12, v19
	s_clause 0x7
	global_load_b64 v[5:6], v[3:4], off
	global_load_b64 v[7:8], v[3:4], off offset:512
	global_load_b64 v[9:10], v[3:4], off offset:1024
	;; [unrolled: 1-line block ×7, first 2 shown]
	v_lshlrev_b64_e32 v[23:24], 3, v[1:2]
	v_or_b32_e32 v19, 0x500, v1
	v_or_b32_e32 v21, 0x600, v1
	;; [unrolled: 1-line block ×4, first 2 shown]
	v_lshl_or_b32 v28, v25, 6, v0
	v_lshlrev_b64_e32 v[19:20], 3, v[19:20]
	v_lshlrev_b64_e32 v[21:22], 3, v[21:22]
	;; [unrolled: 1-line block ×3, first 2 shown]
	s_wait_loadcnt 0x6
	ds_store_2addr_stride64_b64 v27, v[5:6], v[7:8] offset1:1
	s_wait_loadcnt 0x4
	ds_store_2addr_stride64_b64 v27, v[9:10], v[11:12] offset0:2 offset1:3
	s_wait_loadcnt 0x2
	ds_store_2addr_stride64_b64 v27, v[13:14], v[15:16] offset0:4 offset1:5
	;; [unrolled: 2-line block ×3, first 2 shown]
	; wave barrier
	ds_load_b128 v[0:3], v28
	ds_load_b128 v[4:7], v28 offset:16
	ds_load_b128 v[8:11], v28 offset:32
	;; [unrolled: 1-line block ×3, first 2 shown]
	v_add_co_u32 v16, vcc_lo, s2, v23
	s_wait_alu 0xfffd
	v_add_co_ci_u32_e64 v17, null, s3, v24, vcc_lo
	v_add_co_u32 v18, vcc_lo, s2, v19
	s_wait_alu 0xfffd
	v_add_co_ci_u32_e64 v19, null, s3, v20, vcc_lo
	;; [unrolled: 3-line block ×4, first 2 shown]
	s_wait_dscnt 0x3
	s_clause 0x1
	global_store_b64 v[16:17], v[0:1], off
	global_store_b64 v[16:17], v[2:3], off offset:2048
	s_wait_dscnt 0x2
	s_clause 0x1
	global_store_b64 v[16:17], v[4:5], off offset:4096
	global_store_b64 v[16:17], v[6:7], off offset:6144
	s_wait_dscnt 0x1
	s_clause 0x1
	global_store_b64 v[16:17], v[8:9], off offset:8192
	global_store_b64 v[18:19], v[10:11], off
	s_wait_dscnt 0x0
	s_clause 0x1
	global_store_b64 v[20:21], v[12:13], off
	global_store_b64 v[22:23], v[14:15], off
	s_endpgm
	.section	.rodata,"a",@progbits
	.p2align	6, 0x0
	.amdhsa_kernel _Z16warp_load_kernelILj256ELj8ELj64ELN6hipcub17WarpLoadAlgorithmE3EdEvPT3_S3_
		.amdhsa_group_segment_fixed_size 16384
		.amdhsa_private_segment_fixed_size 0
		.amdhsa_kernarg_size 16
		.amdhsa_user_sgpr_count 2
		.amdhsa_user_sgpr_dispatch_ptr 0
		.amdhsa_user_sgpr_queue_ptr 0
		.amdhsa_user_sgpr_kernarg_segment_ptr 1
		.amdhsa_user_sgpr_dispatch_id 0
		.amdhsa_user_sgpr_private_segment_size 0
		.amdhsa_wavefront_size32 1
		.amdhsa_uses_dynamic_stack 0
		.amdhsa_enable_private_segment 0
		.amdhsa_system_sgpr_workgroup_id_x 1
		.amdhsa_system_sgpr_workgroup_id_y 0
		.amdhsa_system_sgpr_workgroup_id_z 0
		.amdhsa_system_sgpr_workgroup_info 0
		.amdhsa_system_vgpr_workitem_id 0
		.amdhsa_next_free_vgpr 29
		.amdhsa_next_free_sgpr 5
		.amdhsa_reserve_vcc 1
		.amdhsa_float_round_mode_32 0
		.amdhsa_float_round_mode_16_64 0
		.amdhsa_float_denorm_mode_32 3
		.amdhsa_float_denorm_mode_16_64 3
		.amdhsa_fp16_overflow 0
		.amdhsa_workgroup_processor_mode 1
		.amdhsa_memory_ordered 1
		.amdhsa_forward_progress 1
		.amdhsa_inst_pref_size 5
		.amdhsa_round_robin_scheduling 0
		.amdhsa_exception_fp_ieee_invalid_op 0
		.amdhsa_exception_fp_denorm_src 0
		.amdhsa_exception_fp_ieee_div_zero 0
		.amdhsa_exception_fp_ieee_overflow 0
		.amdhsa_exception_fp_ieee_underflow 0
		.amdhsa_exception_fp_ieee_inexact 0
		.amdhsa_exception_int_div_zero 0
	.end_amdhsa_kernel
	.section	.text._Z16warp_load_kernelILj256ELj8ELj64ELN6hipcub17WarpLoadAlgorithmE3EdEvPT3_S3_,"axG",@progbits,_Z16warp_load_kernelILj256ELj8ELj64ELN6hipcub17WarpLoadAlgorithmE3EdEvPT3_S3_,comdat
.Lfunc_end63:
	.size	_Z16warp_load_kernelILj256ELj8ELj64ELN6hipcub17WarpLoadAlgorithmE3EdEvPT3_S3_, .Lfunc_end63-_Z16warp_load_kernelILj256ELj8ELj64ELN6hipcub17WarpLoadAlgorithmE3EdEvPT3_S3_
                                        ; -- End function
	.set _Z16warp_load_kernelILj256ELj8ELj64ELN6hipcub17WarpLoadAlgorithmE3EdEvPT3_S3_.num_vgpr, 29
	.set _Z16warp_load_kernelILj256ELj8ELj64ELN6hipcub17WarpLoadAlgorithmE3EdEvPT3_S3_.num_agpr, 0
	.set _Z16warp_load_kernelILj256ELj8ELj64ELN6hipcub17WarpLoadAlgorithmE3EdEvPT3_S3_.numbered_sgpr, 5
	.set _Z16warp_load_kernelILj256ELj8ELj64ELN6hipcub17WarpLoadAlgorithmE3EdEvPT3_S3_.num_named_barrier, 0
	.set _Z16warp_load_kernelILj256ELj8ELj64ELN6hipcub17WarpLoadAlgorithmE3EdEvPT3_S3_.private_seg_size, 0
	.set _Z16warp_load_kernelILj256ELj8ELj64ELN6hipcub17WarpLoadAlgorithmE3EdEvPT3_S3_.uses_vcc, 1
	.set _Z16warp_load_kernelILj256ELj8ELj64ELN6hipcub17WarpLoadAlgorithmE3EdEvPT3_S3_.uses_flat_scratch, 0
	.set _Z16warp_load_kernelILj256ELj8ELj64ELN6hipcub17WarpLoadAlgorithmE3EdEvPT3_S3_.has_dyn_sized_stack, 0
	.set _Z16warp_load_kernelILj256ELj8ELj64ELN6hipcub17WarpLoadAlgorithmE3EdEvPT3_S3_.has_recursion, 0
	.set _Z16warp_load_kernelILj256ELj8ELj64ELN6hipcub17WarpLoadAlgorithmE3EdEvPT3_S3_.has_indirect_call, 0
	.section	.AMDGPU.csdata,"",@progbits
; Kernel info:
; codeLenInByte = 560
; TotalNumSgprs: 7
; NumVgprs: 29
; ScratchSize: 0
; MemoryBound: 1
; FloatMode: 240
; IeeeMode: 1
; LDSByteSize: 16384 bytes/workgroup (compile time only)
; SGPRBlocks: 0
; VGPRBlocks: 3
; NumSGPRsForWavesPerEU: 7
; NumVGPRsForWavesPerEU: 29
; Occupancy: 16
; WaveLimiterHint : 1
; COMPUTE_PGM_RSRC2:SCRATCH_EN: 0
; COMPUTE_PGM_RSRC2:USER_SGPR: 2
; COMPUTE_PGM_RSRC2:TRAP_HANDLER: 0
; COMPUTE_PGM_RSRC2:TGID_X_EN: 1
; COMPUTE_PGM_RSRC2:TGID_Y_EN: 0
; COMPUTE_PGM_RSRC2:TGID_Z_EN: 0
; COMPUTE_PGM_RSRC2:TIDIG_COMP_CNT: 0
	.section	.text._Z16warp_load_kernelILj256ELj16ELj64ELN6hipcub17WarpLoadAlgorithmE0EdEvPT3_S3_,"axG",@progbits,_Z16warp_load_kernelILj256ELj16ELj64ELN6hipcub17WarpLoadAlgorithmE0EdEvPT3_S3_,comdat
	.protected	_Z16warp_load_kernelILj256ELj16ELj64ELN6hipcub17WarpLoadAlgorithmE0EdEvPT3_S3_ ; -- Begin function _Z16warp_load_kernelILj256ELj16ELj64ELN6hipcub17WarpLoadAlgorithmE0EdEvPT3_S3_
	.globl	_Z16warp_load_kernelILj256ELj16ELj64ELN6hipcub17WarpLoadAlgorithmE0EdEvPT3_S3_
	.p2align	8
	.type	_Z16warp_load_kernelILj256ELj16ELj64ELN6hipcub17WarpLoadAlgorithmE0EdEvPT3_S3_,@function
_Z16warp_load_kernelILj256ELj16ELj64ELN6hipcub17WarpLoadAlgorithmE0EdEvPT3_S3_: ; @_Z16warp_load_kernelILj256ELj16ELj64ELN6hipcub17WarpLoadAlgorithmE0EdEvPT3_S3_
; %bb.0:
	s_load_b128 s[0:3], s[0:1], 0x0
	v_dual_mov_b32 v34, 0 :: v_dual_lshlrev_b32 v1, 4, v0
	s_lshl_b32 s4, ttmp9, 12
	v_mbcnt_lo_u32_b32 v3, -1, 0
	s_delay_alu instid0(VALU_DEP_2) | instskip(NEXT) | instid1(VALU_DEP_3)
	v_and_or_b32 v33, 0xc00, v1, s4
	v_mov_b32_e32 v36, v34
	s_delay_alu instid0(VALU_DEP_3) | instskip(NEXT) | instid1(VALU_DEP_3)
	v_dual_mov_b32 v38, v34 :: v_dual_lshlrev_b32 v3, 7, v3
	v_lshlrev_b64_e32 v[1:2], 3, v[33:34]
	v_or_b32_e32 v33, s4, v0
	s_delay_alu instid0(VALU_DEP_1) | instskip(SKIP_4) | instid1(VALU_DEP_1)
	v_or_b32_e32 v35, 0xd00, v33
	v_or_b32_e32 v37, 0xe00, v33
	v_lshlrev_b64_e32 v[39:40], 3, v[33:34]
	s_wait_kmcnt 0x0
	v_add_co_u32 v1, vcc_lo, s0, v1
	v_add_co_ci_u32_e64 v2, null, s1, v2, vcc_lo
	v_or_b32_e32 v33, 0xf00, v33
	s_delay_alu instid0(VALU_DEP_3) | instskip(SKIP_1) | instid1(VALU_DEP_3)
	v_add_co_u32 v29, vcc_lo, v1, v3
	s_wait_alu 0xfffd
	v_add_co_ci_u32_e64 v30, null, 0, v2, vcc_lo
	v_lshlrev_b64_e32 v[35:36], 3, v[35:36]
	v_lshlrev_b64_e32 v[37:38], 3, v[37:38]
	;; [unrolled: 1-line block ×3, first 2 shown]
	s_clause 0x7
	global_load_b128 v[1:4], v[29:30], off
	global_load_b128 v[5:8], v[29:30], off offset:16
	global_load_b128 v[9:12], v[29:30], off offset:32
	global_load_b128 v[13:16], v[29:30], off offset:48
	global_load_b128 v[17:20], v[29:30], off offset:64
	global_load_b128 v[21:24], v[29:30], off offset:80
	global_load_b128 v[25:28], v[29:30], off offset:96
	global_load_b128 v[29:32], v[29:30], off offset:112
	v_add_co_u32 v39, vcc_lo, s2, v39
	s_wait_alu 0xfffd
	v_add_co_ci_u32_e64 v40, null, s3, v40, vcc_lo
	v_add_co_u32 v35, vcc_lo, s2, v35
	s_wait_alu 0xfffd
	v_add_co_ci_u32_e64 v36, null, s3, v36, vcc_lo
	;; [unrolled: 3-line block ×4, first 2 shown]
	s_wait_loadcnt 0x7
	s_clause 0x1
	global_store_b64 v[39:40], v[1:2], off
	global_store_b64 v[39:40], v[3:4], off offset:2048
	s_wait_loadcnt 0x6
	s_clause 0x1
	global_store_b64 v[39:40], v[5:6], off offset:4096
	global_store_b64 v[39:40], v[7:8], off offset:6144
	s_wait_loadcnt 0x5
	s_clause 0x1
	global_store_b64 v[39:40], v[9:10], off offset:8192
	;; [unrolled: 4-line block ×6, first 2 shown]
	global_store_b64 v[35:36], v[27:28], off
	s_wait_loadcnt 0x0
	s_clause 0x1
	global_store_b64 v[37:38], v[29:30], off
	global_store_b64 v[33:34], v[31:32], off
	s_endpgm
	.section	.rodata,"a",@progbits
	.p2align	6, 0x0
	.amdhsa_kernel _Z16warp_load_kernelILj256ELj16ELj64ELN6hipcub17WarpLoadAlgorithmE0EdEvPT3_S3_
		.amdhsa_group_segment_fixed_size 0
		.amdhsa_private_segment_fixed_size 0
		.amdhsa_kernarg_size 16
		.amdhsa_user_sgpr_count 2
		.amdhsa_user_sgpr_dispatch_ptr 0
		.amdhsa_user_sgpr_queue_ptr 0
		.amdhsa_user_sgpr_kernarg_segment_ptr 1
		.amdhsa_user_sgpr_dispatch_id 0
		.amdhsa_user_sgpr_private_segment_size 0
		.amdhsa_wavefront_size32 1
		.amdhsa_uses_dynamic_stack 0
		.amdhsa_enable_private_segment 0
		.amdhsa_system_sgpr_workgroup_id_x 1
		.amdhsa_system_sgpr_workgroup_id_y 0
		.amdhsa_system_sgpr_workgroup_id_z 0
		.amdhsa_system_sgpr_workgroup_info 0
		.amdhsa_system_vgpr_workitem_id 0
		.amdhsa_next_free_vgpr 41
		.amdhsa_next_free_sgpr 5
		.amdhsa_reserve_vcc 1
		.amdhsa_float_round_mode_32 0
		.amdhsa_float_round_mode_16_64 0
		.amdhsa_float_denorm_mode_32 3
		.amdhsa_float_denorm_mode_16_64 3
		.amdhsa_fp16_overflow 0
		.amdhsa_workgroup_processor_mode 1
		.amdhsa_memory_ordered 1
		.amdhsa_forward_progress 1
		.amdhsa_inst_pref_size 5
		.amdhsa_round_robin_scheduling 0
		.amdhsa_exception_fp_ieee_invalid_op 0
		.amdhsa_exception_fp_denorm_src 0
		.amdhsa_exception_fp_ieee_div_zero 0
		.amdhsa_exception_fp_ieee_overflow 0
		.amdhsa_exception_fp_ieee_underflow 0
		.amdhsa_exception_fp_ieee_inexact 0
		.amdhsa_exception_int_div_zero 0
	.end_amdhsa_kernel
	.section	.text._Z16warp_load_kernelILj256ELj16ELj64ELN6hipcub17WarpLoadAlgorithmE0EdEvPT3_S3_,"axG",@progbits,_Z16warp_load_kernelILj256ELj16ELj64ELN6hipcub17WarpLoadAlgorithmE0EdEvPT3_S3_,comdat
.Lfunc_end64:
	.size	_Z16warp_load_kernelILj256ELj16ELj64ELN6hipcub17WarpLoadAlgorithmE0EdEvPT3_S3_, .Lfunc_end64-_Z16warp_load_kernelILj256ELj16ELj64ELN6hipcub17WarpLoadAlgorithmE0EdEvPT3_S3_
                                        ; -- End function
	.set _Z16warp_load_kernelILj256ELj16ELj64ELN6hipcub17WarpLoadAlgorithmE0EdEvPT3_S3_.num_vgpr, 41
	.set _Z16warp_load_kernelILj256ELj16ELj64ELN6hipcub17WarpLoadAlgorithmE0EdEvPT3_S3_.num_agpr, 0
	.set _Z16warp_load_kernelILj256ELj16ELj64ELN6hipcub17WarpLoadAlgorithmE0EdEvPT3_S3_.numbered_sgpr, 5
	.set _Z16warp_load_kernelILj256ELj16ELj64ELN6hipcub17WarpLoadAlgorithmE0EdEvPT3_S3_.num_named_barrier, 0
	.set _Z16warp_load_kernelILj256ELj16ELj64ELN6hipcub17WarpLoadAlgorithmE0EdEvPT3_S3_.private_seg_size, 0
	.set _Z16warp_load_kernelILj256ELj16ELj64ELN6hipcub17WarpLoadAlgorithmE0EdEvPT3_S3_.uses_vcc, 1
	.set _Z16warp_load_kernelILj256ELj16ELj64ELN6hipcub17WarpLoadAlgorithmE0EdEvPT3_S3_.uses_flat_scratch, 0
	.set _Z16warp_load_kernelILj256ELj16ELj64ELN6hipcub17WarpLoadAlgorithmE0EdEvPT3_S3_.has_dyn_sized_stack, 0
	.set _Z16warp_load_kernelILj256ELj16ELj64ELN6hipcub17WarpLoadAlgorithmE0EdEvPT3_S3_.has_recursion, 0
	.set _Z16warp_load_kernelILj256ELj16ELj64ELN6hipcub17WarpLoadAlgorithmE0EdEvPT3_S3_.has_indirect_call, 0
	.section	.AMDGPU.csdata,"",@progbits
; Kernel info:
; codeLenInByte = 596
; TotalNumSgprs: 7
; NumVgprs: 41
; ScratchSize: 0
; MemoryBound: 1
; FloatMode: 240
; IeeeMode: 1
; LDSByteSize: 0 bytes/workgroup (compile time only)
; SGPRBlocks: 0
; VGPRBlocks: 5
; NumSGPRsForWavesPerEU: 7
; NumVGPRsForWavesPerEU: 41
; Occupancy: 16
; WaveLimiterHint : 1
; COMPUTE_PGM_RSRC2:SCRATCH_EN: 0
; COMPUTE_PGM_RSRC2:USER_SGPR: 2
; COMPUTE_PGM_RSRC2:TRAP_HANDLER: 0
; COMPUTE_PGM_RSRC2:TGID_X_EN: 1
; COMPUTE_PGM_RSRC2:TGID_Y_EN: 0
; COMPUTE_PGM_RSRC2:TGID_Z_EN: 0
; COMPUTE_PGM_RSRC2:TIDIG_COMP_CNT: 0
	.section	.text._Z16warp_load_kernelILj256ELj16ELj64ELN6hipcub17WarpLoadAlgorithmE1EdEvPT3_S3_,"axG",@progbits,_Z16warp_load_kernelILj256ELj16ELj64ELN6hipcub17WarpLoadAlgorithmE1EdEvPT3_S3_,comdat
	.protected	_Z16warp_load_kernelILj256ELj16ELj64ELN6hipcub17WarpLoadAlgorithmE1EdEvPT3_S3_ ; -- Begin function _Z16warp_load_kernelILj256ELj16ELj64ELN6hipcub17WarpLoadAlgorithmE1EdEvPT3_S3_
	.globl	_Z16warp_load_kernelILj256ELj16ELj64ELN6hipcub17WarpLoadAlgorithmE1EdEvPT3_S3_
	.p2align	8
	.type	_Z16warp_load_kernelILj256ELj16ELj64ELN6hipcub17WarpLoadAlgorithmE1EdEvPT3_S3_,@function
_Z16warp_load_kernelILj256ELj16ELj64ELN6hipcub17WarpLoadAlgorithmE1EdEvPT3_S3_: ; @_Z16warp_load_kernelILj256ELj16ELj64ELN6hipcub17WarpLoadAlgorithmE1EdEvPT3_S3_
; %bb.0:
	s_load_b128 s[0:3], s[0:1], 0x0
	v_dual_mov_b32 v2, 0 :: v_dual_lshlrev_b32 v1, 4, v0
	s_lshl_b32 s4, ttmp9, 12
	v_mbcnt_lo_u32_b32 v5, -1, 0
	s_delay_alu instid0(VALU_DEP_2) | instskip(NEXT) | instid1(VALU_DEP_3)
	v_and_or_b32 v1, 0xc00, v1, s4
	v_mov_b32_e32 v38, v2
	v_mov_b32_e32 v36, v2
	s_delay_alu instid0(VALU_DEP_3) | instskip(SKIP_2) | instid1(VALU_DEP_2)
	v_lshlrev_b64_e32 v[3:4], 3, v[1:2]
	v_lshlrev_b32_e32 v1, 3, v5
	s_wait_kmcnt 0x0
	v_add_co_u32 v3, vcc_lo, s0, v3
	s_delay_alu instid0(VALU_DEP_1) | instskip(NEXT) | instid1(VALU_DEP_2)
	v_add_co_ci_u32_e64 v4, null, s1, v4, vcc_lo
	v_add_co_u32 v3, vcc_lo, v3, v1
	s_wait_alu 0xfffd
	s_delay_alu instid0(VALU_DEP_2)
	v_add_co_ci_u32_e64 v4, null, 0, v4, vcc_lo
	v_or_b32_e32 v1, s4, v0
	s_clause 0xf
	global_load_b64 v[5:6], v[3:4], off
	global_load_b64 v[7:8], v[3:4], off offset:512
	global_load_b64 v[9:10], v[3:4], off offset:1024
	;; [unrolled: 1-line block ×15, first 2 shown]
	v_or_b32_e32 v35, 0xd00, v1
	v_or_b32_e32 v37, 0xe00, v1
	v_lshlrev_b64_e32 v[39:40], 3, v[1:2]
	v_or_b32_e32 v1, 0xf00, v1
	s_delay_alu instid0(VALU_DEP_4) | instskip(NEXT) | instid1(VALU_DEP_4)
	v_lshlrev_b64_e32 v[35:36], 3, v[35:36]
	v_lshlrev_b64_e32 v[37:38], 3, v[37:38]
	s_delay_alu instid0(VALU_DEP_3)
	v_lshlrev_b64_e32 v[0:1], 3, v[1:2]
	v_add_co_u32 v39, vcc_lo, s2, v39
	s_wait_alu 0xfffd
	v_add_co_ci_u32_e64 v40, null, s3, v40, vcc_lo
	v_add_co_u32 v35, vcc_lo, s2, v35
	s_wait_alu 0xfffd
	v_add_co_ci_u32_e64 v36, null, s3, v36, vcc_lo
	v_add_co_u32 v37, vcc_lo, s2, v37
	s_wait_alu 0xfffd
	v_add_co_ci_u32_e64 v38, null, s3, v38, vcc_lo
	v_add_co_u32 v0, vcc_lo, s2, v0
	s_wait_alu 0xfffd
	v_add_co_ci_u32_e64 v1, null, s3, v1, vcc_lo
	s_wait_loadcnt 0xf
	global_store_b64 v[39:40], v[5:6], off
	s_wait_loadcnt 0xe
	global_store_b64 v[39:40], v[7:8], off offset:2048
	s_wait_loadcnt 0xd
	global_store_b64 v[39:40], v[9:10], off offset:4096
	;; [unrolled: 2-line block ×12, first 2 shown]
	s_wait_loadcnt 0x2
	global_store_b64 v[35:36], v[31:32], off
	s_wait_loadcnt 0x1
	global_store_b64 v[37:38], v[33:34], off
	;; [unrolled: 2-line block ×3, first 2 shown]
	s_endpgm
	.section	.rodata,"a",@progbits
	.p2align	6, 0x0
	.amdhsa_kernel _Z16warp_load_kernelILj256ELj16ELj64ELN6hipcub17WarpLoadAlgorithmE1EdEvPT3_S3_
		.amdhsa_group_segment_fixed_size 0
		.amdhsa_private_segment_fixed_size 0
		.amdhsa_kernarg_size 16
		.amdhsa_user_sgpr_count 2
		.amdhsa_user_sgpr_dispatch_ptr 0
		.amdhsa_user_sgpr_queue_ptr 0
		.amdhsa_user_sgpr_kernarg_segment_ptr 1
		.amdhsa_user_sgpr_dispatch_id 0
		.amdhsa_user_sgpr_private_segment_size 0
		.amdhsa_wavefront_size32 1
		.amdhsa_uses_dynamic_stack 0
		.amdhsa_enable_private_segment 0
		.amdhsa_system_sgpr_workgroup_id_x 1
		.amdhsa_system_sgpr_workgroup_id_y 0
		.amdhsa_system_sgpr_workgroup_id_z 0
		.amdhsa_system_sgpr_workgroup_info 0
		.amdhsa_system_vgpr_workitem_id 0
		.amdhsa_next_free_vgpr 41
		.amdhsa_next_free_sgpr 5
		.amdhsa_reserve_vcc 1
		.amdhsa_float_round_mode_32 0
		.amdhsa_float_round_mode_16_64 0
		.amdhsa_float_denorm_mode_32 3
		.amdhsa_float_denorm_mode_16_64 3
		.amdhsa_fp16_overflow 0
		.amdhsa_workgroup_processor_mode 1
		.amdhsa_memory_ordered 1
		.amdhsa_forward_progress 1
		.amdhsa_inst_pref_size 6
		.amdhsa_round_robin_scheduling 0
		.amdhsa_exception_fp_ieee_invalid_op 0
		.amdhsa_exception_fp_denorm_src 0
		.amdhsa_exception_fp_ieee_div_zero 0
		.amdhsa_exception_fp_ieee_overflow 0
		.amdhsa_exception_fp_ieee_underflow 0
		.amdhsa_exception_fp_ieee_inexact 0
		.amdhsa_exception_int_div_zero 0
	.end_amdhsa_kernel
	.section	.text._Z16warp_load_kernelILj256ELj16ELj64ELN6hipcub17WarpLoadAlgorithmE1EdEvPT3_S3_,"axG",@progbits,_Z16warp_load_kernelILj256ELj16ELj64ELN6hipcub17WarpLoadAlgorithmE1EdEvPT3_S3_,comdat
.Lfunc_end65:
	.size	_Z16warp_load_kernelILj256ELj16ELj64ELN6hipcub17WarpLoadAlgorithmE1EdEvPT3_S3_, .Lfunc_end65-_Z16warp_load_kernelILj256ELj16ELj64ELN6hipcub17WarpLoadAlgorithmE1EdEvPT3_S3_
                                        ; -- End function
	.set _Z16warp_load_kernelILj256ELj16ELj64ELN6hipcub17WarpLoadAlgorithmE1EdEvPT3_S3_.num_vgpr, 41
	.set _Z16warp_load_kernelILj256ELj16ELj64ELN6hipcub17WarpLoadAlgorithmE1EdEvPT3_S3_.num_agpr, 0
	.set _Z16warp_load_kernelILj256ELj16ELj64ELN6hipcub17WarpLoadAlgorithmE1EdEvPT3_S3_.numbered_sgpr, 5
	.set _Z16warp_load_kernelILj256ELj16ELj64ELN6hipcub17WarpLoadAlgorithmE1EdEvPT3_S3_.num_named_barrier, 0
	.set _Z16warp_load_kernelILj256ELj16ELj64ELN6hipcub17WarpLoadAlgorithmE1EdEvPT3_S3_.private_seg_size, 0
	.set _Z16warp_load_kernelILj256ELj16ELj64ELN6hipcub17WarpLoadAlgorithmE1EdEvPT3_S3_.uses_vcc, 1
	.set _Z16warp_load_kernelILj256ELj16ELj64ELN6hipcub17WarpLoadAlgorithmE1EdEvPT3_S3_.uses_flat_scratch, 0
	.set _Z16warp_load_kernelILj256ELj16ELj64ELN6hipcub17WarpLoadAlgorithmE1EdEvPT3_S3_.has_dyn_sized_stack, 0
	.set _Z16warp_load_kernelILj256ELj16ELj64ELN6hipcub17WarpLoadAlgorithmE1EdEvPT3_S3_.has_recursion, 0
	.set _Z16warp_load_kernelILj256ELj16ELj64ELN6hipcub17WarpLoadAlgorithmE1EdEvPT3_S3_.has_indirect_call, 0
	.section	.AMDGPU.csdata,"",@progbits
; Kernel info:
; codeLenInByte = 700
; TotalNumSgprs: 7
; NumVgprs: 41
; ScratchSize: 0
; MemoryBound: 1
; FloatMode: 240
; IeeeMode: 1
; LDSByteSize: 0 bytes/workgroup (compile time only)
; SGPRBlocks: 0
; VGPRBlocks: 5
; NumSGPRsForWavesPerEU: 7
; NumVGPRsForWavesPerEU: 41
; Occupancy: 16
; WaveLimiterHint : 1
; COMPUTE_PGM_RSRC2:SCRATCH_EN: 0
; COMPUTE_PGM_RSRC2:USER_SGPR: 2
; COMPUTE_PGM_RSRC2:TRAP_HANDLER: 0
; COMPUTE_PGM_RSRC2:TGID_X_EN: 1
; COMPUTE_PGM_RSRC2:TGID_Y_EN: 0
; COMPUTE_PGM_RSRC2:TGID_Z_EN: 0
; COMPUTE_PGM_RSRC2:TIDIG_COMP_CNT: 0
	.section	.text._Z16warp_load_kernelILj256ELj16ELj64ELN6hipcub17WarpLoadAlgorithmE2EdEvPT3_S3_,"axG",@progbits,_Z16warp_load_kernelILj256ELj16ELj64ELN6hipcub17WarpLoadAlgorithmE2EdEvPT3_S3_,comdat
	.protected	_Z16warp_load_kernelILj256ELj16ELj64ELN6hipcub17WarpLoadAlgorithmE2EdEvPT3_S3_ ; -- Begin function _Z16warp_load_kernelILj256ELj16ELj64ELN6hipcub17WarpLoadAlgorithmE2EdEvPT3_S3_
	.globl	_Z16warp_load_kernelILj256ELj16ELj64ELN6hipcub17WarpLoadAlgorithmE2EdEvPT3_S3_
	.p2align	8
	.type	_Z16warp_load_kernelILj256ELj16ELj64ELN6hipcub17WarpLoadAlgorithmE2EdEvPT3_S3_,@function
_Z16warp_load_kernelILj256ELj16ELj64ELN6hipcub17WarpLoadAlgorithmE2EdEvPT3_S3_: ; @_Z16warp_load_kernelILj256ELj16ELj64ELN6hipcub17WarpLoadAlgorithmE2EdEvPT3_S3_
; %bb.0:
	s_load_b128 s[0:3], s[0:1], 0x0
	v_dual_mov_b32 v34, 0 :: v_dual_lshlrev_b32 v1, 4, v0
	s_lshl_b32 s4, ttmp9, 12
	v_mbcnt_lo_u32_b32 v3, -1, 0
	s_delay_alu instid0(VALU_DEP_2) | instskip(NEXT) | instid1(VALU_DEP_3)
	v_and_or_b32 v33, 0xc00, v1, s4
	v_mov_b32_e32 v36, v34
	s_delay_alu instid0(VALU_DEP_3) | instskip(NEXT) | instid1(VALU_DEP_3)
	v_dual_mov_b32 v38, v34 :: v_dual_lshlrev_b32 v3, 7, v3
	v_lshlrev_b64_e32 v[1:2], 3, v[33:34]
	v_or_b32_e32 v33, s4, v0
	s_delay_alu instid0(VALU_DEP_1) | instskip(SKIP_4) | instid1(VALU_DEP_1)
	v_or_b32_e32 v35, 0xd00, v33
	v_or_b32_e32 v37, 0xe00, v33
	v_lshlrev_b64_e32 v[39:40], 3, v[33:34]
	s_wait_kmcnt 0x0
	v_add_co_u32 v1, vcc_lo, s0, v1
	v_add_co_ci_u32_e64 v2, null, s1, v2, vcc_lo
	v_or_b32_e32 v33, 0xf00, v33
	s_delay_alu instid0(VALU_DEP_3) | instskip(SKIP_1) | instid1(VALU_DEP_3)
	v_add_co_u32 v29, vcc_lo, v1, v3
	s_wait_alu 0xfffd
	v_add_co_ci_u32_e64 v30, null, 0, v2, vcc_lo
	v_lshlrev_b64_e32 v[35:36], 3, v[35:36]
	v_lshlrev_b64_e32 v[37:38], 3, v[37:38]
	v_lshlrev_b64_e32 v[33:34], 3, v[33:34]
	s_clause 0x7
	global_load_b128 v[1:4], v[29:30], off
	global_load_b128 v[5:8], v[29:30], off offset:16
	global_load_b128 v[9:12], v[29:30], off offset:32
	;; [unrolled: 1-line block ×7, first 2 shown]
	v_add_co_u32 v39, vcc_lo, s2, v39
	s_wait_alu 0xfffd
	v_add_co_ci_u32_e64 v40, null, s3, v40, vcc_lo
	v_add_co_u32 v35, vcc_lo, s2, v35
	s_wait_alu 0xfffd
	v_add_co_ci_u32_e64 v36, null, s3, v36, vcc_lo
	;; [unrolled: 3-line block ×4, first 2 shown]
	s_wait_loadcnt 0x7
	s_clause 0x1
	global_store_b64 v[39:40], v[1:2], off
	global_store_b64 v[39:40], v[3:4], off offset:2048
	s_wait_loadcnt 0x6
	s_clause 0x1
	global_store_b64 v[39:40], v[5:6], off offset:4096
	global_store_b64 v[39:40], v[7:8], off offset:6144
	s_wait_loadcnt 0x5
	s_clause 0x1
	global_store_b64 v[39:40], v[9:10], off offset:8192
	;; [unrolled: 4-line block ×6, first 2 shown]
	global_store_b64 v[35:36], v[27:28], off
	s_wait_loadcnt 0x0
	s_clause 0x1
	global_store_b64 v[37:38], v[29:30], off
	global_store_b64 v[33:34], v[31:32], off
	s_endpgm
	.section	.rodata,"a",@progbits
	.p2align	6, 0x0
	.amdhsa_kernel _Z16warp_load_kernelILj256ELj16ELj64ELN6hipcub17WarpLoadAlgorithmE2EdEvPT3_S3_
		.amdhsa_group_segment_fixed_size 0
		.amdhsa_private_segment_fixed_size 0
		.amdhsa_kernarg_size 16
		.amdhsa_user_sgpr_count 2
		.amdhsa_user_sgpr_dispatch_ptr 0
		.amdhsa_user_sgpr_queue_ptr 0
		.amdhsa_user_sgpr_kernarg_segment_ptr 1
		.amdhsa_user_sgpr_dispatch_id 0
		.amdhsa_user_sgpr_private_segment_size 0
		.amdhsa_wavefront_size32 1
		.amdhsa_uses_dynamic_stack 0
		.amdhsa_enable_private_segment 0
		.amdhsa_system_sgpr_workgroup_id_x 1
		.amdhsa_system_sgpr_workgroup_id_y 0
		.amdhsa_system_sgpr_workgroup_id_z 0
		.amdhsa_system_sgpr_workgroup_info 0
		.amdhsa_system_vgpr_workitem_id 0
		.amdhsa_next_free_vgpr 41
		.amdhsa_next_free_sgpr 5
		.amdhsa_reserve_vcc 1
		.amdhsa_float_round_mode_32 0
		.amdhsa_float_round_mode_16_64 0
		.amdhsa_float_denorm_mode_32 3
		.amdhsa_float_denorm_mode_16_64 3
		.amdhsa_fp16_overflow 0
		.amdhsa_workgroup_processor_mode 1
		.amdhsa_memory_ordered 1
		.amdhsa_forward_progress 1
		.amdhsa_inst_pref_size 5
		.amdhsa_round_robin_scheduling 0
		.amdhsa_exception_fp_ieee_invalid_op 0
		.amdhsa_exception_fp_denorm_src 0
		.amdhsa_exception_fp_ieee_div_zero 0
		.amdhsa_exception_fp_ieee_overflow 0
		.amdhsa_exception_fp_ieee_underflow 0
		.amdhsa_exception_fp_ieee_inexact 0
		.amdhsa_exception_int_div_zero 0
	.end_amdhsa_kernel
	.section	.text._Z16warp_load_kernelILj256ELj16ELj64ELN6hipcub17WarpLoadAlgorithmE2EdEvPT3_S3_,"axG",@progbits,_Z16warp_load_kernelILj256ELj16ELj64ELN6hipcub17WarpLoadAlgorithmE2EdEvPT3_S3_,comdat
.Lfunc_end66:
	.size	_Z16warp_load_kernelILj256ELj16ELj64ELN6hipcub17WarpLoadAlgorithmE2EdEvPT3_S3_, .Lfunc_end66-_Z16warp_load_kernelILj256ELj16ELj64ELN6hipcub17WarpLoadAlgorithmE2EdEvPT3_S3_
                                        ; -- End function
	.set _Z16warp_load_kernelILj256ELj16ELj64ELN6hipcub17WarpLoadAlgorithmE2EdEvPT3_S3_.num_vgpr, 41
	.set _Z16warp_load_kernelILj256ELj16ELj64ELN6hipcub17WarpLoadAlgorithmE2EdEvPT3_S3_.num_agpr, 0
	.set _Z16warp_load_kernelILj256ELj16ELj64ELN6hipcub17WarpLoadAlgorithmE2EdEvPT3_S3_.numbered_sgpr, 5
	.set _Z16warp_load_kernelILj256ELj16ELj64ELN6hipcub17WarpLoadAlgorithmE2EdEvPT3_S3_.num_named_barrier, 0
	.set _Z16warp_load_kernelILj256ELj16ELj64ELN6hipcub17WarpLoadAlgorithmE2EdEvPT3_S3_.private_seg_size, 0
	.set _Z16warp_load_kernelILj256ELj16ELj64ELN6hipcub17WarpLoadAlgorithmE2EdEvPT3_S3_.uses_vcc, 1
	.set _Z16warp_load_kernelILj256ELj16ELj64ELN6hipcub17WarpLoadAlgorithmE2EdEvPT3_S3_.uses_flat_scratch, 0
	.set _Z16warp_load_kernelILj256ELj16ELj64ELN6hipcub17WarpLoadAlgorithmE2EdEvPT3_S3_.has_dyn_sized_stack, 0
	.set _Z16warp_load_kernelILj256ELj16ELj64ELN6hipcub17WarpLoadAlgorithmE2EdEvPT3_S3_.has_recursion, 0
	.set _Z16warp_load_kernelILj256ELj16ELj64ELN6hipcub17WarpLoadAlgorithmE2EdEvPT3_S3_.has_indirect_call, 0
	.section	.AMDGPU.csdata,"",@progbits
; Kernel info:
; codeLenInByte = 596
; TotalNumSgprs: 7
; NumVgprs: 41
; ScratchSize: 0
; MemoryBound: 1
; FloatMode: 240
; IeeeMode: 1
; LDSByteSize: 0 bytes/workgroup (compile time only)
; SGPRBlocks: 0
; VGPRBlocks: 5
; NumSGPRsForWavesPerEU: 7
; NumVGPRsForWavesPerEU: 41
; Occupancy: 16
; WaveLimiterHint : 1
; COMPUTE_PGM_RSRC2:SCRATCH_EN: 0
; COMPUTE_PGM_RSRC2:USER_SGPR: 2
; COMPUTE_PGM_RSRC2:TRAP_HANDLER: 0
; COMPUTE_PGM_RSRC2:TGID_X_EN: 1
; COMPUTE_PGM_RSRC2:TGID_Y_EN: 0
; COMPUTE_PGM_RSRC2:TGID_Z_EN: 0
; COMPUTE_PGM_RSRC2:TIDIG_COMP_CNT: 0
	.section	.text._Z16warp_load_kernelILj256ELj32ELj64ELN6hipcub17WarpLoadAlgorithmE0EdEvPT3_S3_,"axG",@progbits,_Z16warp_load_kernelILj256ELj32ELj64ELN6hipcub17WarpLoadAlgorithmE0EdEvPT3_S3_,comdat
	.protected	_Z16warp_load_kernelILj256ELj32ELj64ELN6hipcub17WarpLoadAlgorithmE0EdEvPT3_S3_ ; -- Begin function _Z16warp_load_kernelILj256ELj32ELj64ELN6hipcub17WarpLoadAlgorithmE0EdEvPT3_S3_
	.globl	_Z16warp_load_kernelILj256ELj32ELj64ELN6hipcub17WarpLoadAlgorithmE0EdEvPT3_S3_
	.p2align	8
	.type	_Z16warp_load_kernelILj256ELj32ELj64ELN6hipcub17WarpLoadAlgorithmE0EdEvPT3_S3_,@function
_Z16warp_load_kernelILj256ELj32ELj64ELN6hipcub17WarpLoadAlgorithmE0EdEvPT3_S3_: ; @_Z16warp_load_kernelILj256ELj32ELj64ELN6hipcub17WarpLoadAlgorithmE0EdEvPT3_S3_
; %bb.0:
	s_load_b128 s[0:3], s[0:1], 0x0
	v_dual_mov_b32 v66, 0 :: v_dual_lshlrev_b32 v1, 5, v0
	s_lshl_b32 s4, ttmp9, 13
	v_mbcnt_lo_u32_b32 v3, -1, 0
	s_delay_alu instid0(VALU_DEP_2) | instskip(NEXT) | instid1(VALU_DEP_3)
	v_and_or_b32 v65, 0x1800, v1, s4
	v_mov_b32_e32 v68, v66
	s_delay_alu instid0(VALU_DEP_3) | instskip(NEXT) | instid1(VALU_DEP_3)
	v_dual_mov_b32 v70, v66 :: v_dual_lshlrev_b32 v3, 8, v3
	v_lshlrev_b64_e32 v[1:2], 3, v[65:66]
	v_or_b32_e32 v65, s4, v0
	s_delay_alu instid0(VALU_DEP_1) | instskip(SKIP_4) | instid1(VALU_DEP_1)
	v_or_b32_e32 v67, 0x1d00, v65
	v_or_b32_e32 v69, 0x1e00, v65
	v_lshlrev_b64_e32 v[71:72], 3, v[65:66]
	s_wait_kmcnt 0x0
	v_add_co_u32 v1, vcc_lo, s0, v1
	v_add_co_ci_u32_e64 v2, null, s1, v2, vcc_lo
	v_or_b32_e32 v65, 0x1f00, v65
	s_delay_alu instid0(VALU_DEP_3) | instskip(SKIP_1) | instid1(VALU_DEP_3)
	v_add_co_u32 v61, vcc_lo, v1, v3
	s_wait_alu 0xfffd
	v_add_co_ci_u32_e64 v62, null, 0, v2, vcc_lo
	v_lshlrev_b64_e32 v[67:68], 3, v[67:68]
	v_lshlrev_b64_e32 v[69:70], 3, v[69:70]
	;; [unrolled: 1-line block ×3, first 2 shown]
	s_clause 0xf
	global_load_b128 v[1:4], v[61:62], off
	global_load_b128 v[5:8], v[61:62], off offset:16
	global_load_b128 v[9:12], v[61:62], off offset:32
	;; [unrolled: 1-line block ×15, first 2 shown]
	v_add_co_u32 v71, vcc_lo, s2, v71
	s_wait_alu 0xfffd
	v_add_co_ci_u32_e64 v72, null, s3, v72, vcc_lo
	v_add_co_u32 v67, vcc_lo, s2, v67
	s_wait_alu 0xfffd
	v_add_co_ci_u32_e64 v68, null, s3, v68, vcc_lo
	;; [unrolled: 3-line block ×4, first 2 shown]
	s_wait_loadcnt 0xf
	s_clause 0x1
	global_store_b64 v[71:72], v[1:2], off
	global_store_b64 v[71:72], v[3:4], off offset:2048
	s_wait_loadcnt 0xe
	s_clause 0x1
	global_store_b64 v[71:72], v[5:6], off offset:4096
	global_store_b64 v[71:72], v[7:8], off offset:6144
	s_wait_loadcnt 0xd
	s_clause 0x1
	global_store_b64 v[71:72], v[9:10], off offset:8192
	;; [unrolled: 4-line block ×14, first 2 shown]
	global_store_b64 v[67:68], v[59:60], off
	s_wait_loadcnt 0x0
	s_clause 0x1
	global_store_b64 v[69:70], v[61:62], off
	global_store_b64 v[65:66], v[63:64], off
	s_endpgm
	.section	.rodata,"a",@progbits
	.p2align	6, 0x0
	.amdhsa_kernel _Z16warp_load_kernelILj256ELj32ELj64ELN6hipcub17WarpLoadAlgorithmE0EdEvPT3_S3_
		.amdhsa_group_segment_fixed_size 0
		.amdhsa_private_segment_fixed_size 0
		.amdhsa_kernarg_size 16
		.amdhsa_user_sgpr_count 2
		.amdhsa_user_sgpr_dispatch_ptr 0
		.amdhsa_user_sgpr_queue_ptr 0
		.amdhsa_user_sgpr_kernarg_segment_ptr 1
		.amdhsa_user_sgpr_dispatch_id 0
		.amdhsa_user_sgpr_private_segment_size 0
		.amdhsa_wavefront_size32 1
		.amdhsa_uses_dynamic_stack 0
		.amdhsa_enable_private_segment 0
		.amdhsa_system_sgpr_workgroup_id_x 1
		.amdhsa_system_sgpr_workgroup_id_y 0
		.amdhsa_system_sgpr_workgroup_id_z 0
		.amdhsa_system_sgpr_workgroup_info 0
		.amdhsa_system_vgpr_workitem_id 0
		.amdhsa_next_free_vgpr 73
		.amdhsa_next_free_sgpr 5
		.amdhsa_reserve_vcc 1
		.amdhsa_float_round_mode_32 0
		.amdhsa_float_round_mode_16_64 0
		.amdhsa_float_denorm_mode_32 3
		.amdhsa_float_denorm_mode_16_64 3
		.amdhsa_fp16_overflow 0
		.amdhsa_workgroup_processor_mode 1
		.amdhsa_memory_ordered 1
		.amdhsa_forward_progress 1
		.amdhsa_inst_pref_size 8
		.amdhsa_round_robin_scheduling 0
		.amdhsa_exception_fp_ieee_invalid_op 0
		.amdhsa_exception_fp_denorm_src 0
		.amdhsa_exception_fp_ieee_div_zero 0
		.amdhsa_exception_fp_ieee_overflow 0
		.amdhsa_exception_fp_ieee_underflow 0
		.amdhsa_exception_fp_ieee_inexact 0
		.amdhsa_exception_int_div_zero 0
	.end_amdhsa_kernel
	.section	.text._Z16warp_load_kernelILj256ELj32ELj64ELN6hipcub17WarpLoadAlgorithmE0EdEvPT3_S3_,"axG",@progbits,_Z16warp_load_kernelILj256ELj32ELj64ELN6hipcub17WarpLoadAlgorithmE0EdEvPT3_S3_,comdat
.Lfunc_end67:
	.size	_Z16warp_load_kernelILj256ELj32ELj64ELN6hipcub17WarpLoadAlgorithmE0EdEvPT3_S3_, .Lfunc_end67-_Z16warp_load_kernelILj256ELj32ELj64ELN6hipcub17WarpLoadAlgorithmE0EdEvPT3_S3_
                                        ; -- End function
	.set _Z16warp_load_kernelILj256ELj32ELj64ELN6hipcub17WarpLoadAlgorithmE0EdEvPT3_S3_.num_vgpr, 73
	.set _Z16warp_load_kernelILj256ELj32ELj64ELN6hipcub17WarpLoadAlgorithmE0EdEvPT3_S3_.num_agpr, 0
	.set _Z16warp_load_kernelILj256ELj32ELj64ELN6hipcub17WarpLoadAlgorithmE0EdEvPT3_S3_.numbered_sgpr, 5
	.set _Z16warp_load_kernelILj256ELj32ELj64ELN6hipcub17WarpLoadAlgorithmE0EdEvPT3_S3_.num_named_barrier, 0
	.set _Z16warp_load_kernelILj256ELj32ELj64ELN6hipcub17WarpLoadAlgorithmE0EdEvPT3_S3_.private_seg_size, 0
	.set _Z16warp_load_kernelILj256ELj32ELj64ELN6hipcub17WarpLoadAlgorithmE0EdEvPT3_S3_.uses_vcc, 1
	.set _Z16warp_load_kernelILj256ELj32ELj64ELN6hipcub17WarpLoadAlgorithmE0EdEvPT3_S3_.uses_flat_scratch, 0
	.set _Z16warp_load_kernelILj256ELj32ELj64ELN6hipcub17WarpLoadAlgorithmE0EdEvPT3_S3_.has_dyn_sized_stack, 0
	.set _Z16warp_load_kernelILj256ELj32ELj64ELN6hipcub17WarpLoadAlgorithmE0EdEvPT3_S3_.has_recursion, 0
	.set _Z16warp_load_kernelILj256ELj32ELj64ELN6hipcub17WarpLoadAlgorithmE0EdEvPT3_S3_.has_indirect_call, 0
	.section	.AMDGPU.csdata,"",@progbits
; Kernel info:
; codeLenInByte = 948
; TotalNumSgprs: 7
; NumVgprs: 73
; ScratchSize: 0
; MemoryBound: 1
; FloatMode: 240
; IeeeMode: 1
; LDSByteSize: 0 bytes/workgroup (compile time only)
; SGPRBlocks: 0
; VGPRBlocks: 9
; NumSGPRsForWavesPerEU: 7
; NumVGPRsForWavesPerEU: 73
; Occupancy: 16
; WaveLimiterHint : 1
; COMPUTE_PGM_RSRC2:SCRATCH_EN: 0
; COMPUTE_PGM_RSRC2:USER_SGPR: 2
; COMPUTE_PGM_RSRC2:TRAP_HANDLER: 0
; COMPUTE_PGM_RSRC2:TGID_X_EN: 1
; COMPUTE_PGM_RSRC2:TGID_Y_EN: 0
; COMPUTE_PGM_RSRC2:TGID_Z_EN: 0
; COMPUTE_PGM_RSRC2:TIDIG_COMP_CNT: 0
	.section	.text._Z16warp_load_kernelILj256ELj32ELj64ELN6hipcub17WarpLoadAlgorithmE1EdEvPT3_S3_,"axG",@progbits,_Z16warp_load_kernelILj256ELj32ELj64ELN6hipcub17WarpLoadAlgorithmE1EdEvPT3_S3_,comdat
	.protected	_Z16warp_load_kernelILj256ELj32ELj64ELN6hipcub17WarpLoadAlgorithmE1EdEvPT3_S3_ ; -- Begin function _Z16warp_load_kernelILj256ELj32ELj64ELN6hipcub17WarpLoadAlgorithmE1EdEvPT3_S3_
	.globl	_Z16warp_load_kernelILj256ELj32ELj64ELN6hipcub17WarpLoadAlgorithmE1EdEvPT3_S3_
	.p2align	8
	.type	_Z16warp_load_kernelILj256ELj32ELj64ELN6hipcub17WarpLoadAlgorithmE1EdEvPT3_S3_,@function
_Z16warp_load_kernelILj256ELj32ELj64ELN6hipcub17WarpLoadAlgorithmE1EdEvPT3_S3_: ; @_Z16warp_load_kernelILj256ELj32ELj64ELN6hipcub17WarpLoadAlgorithmE1EdEvPT3_S3_
; %bb.0:
	s_load_b128 s[0:3], s[0:1], 0x0
	v_dual_mov_b32 v2, 0 :: v_dual_lshlrev_b32 v1, 5, v0
	s_lshl_b32 s4, ttmp9, 13
	v_mbcnt_lo_u32_b32 v5, -1, 0
	s_delay_alu instid0(VALU_DEP_2) | instskip(NEXT) | instid1(VALU_DEP_3)
	v_and_or_b32 v1, 0x1800, v1, s4
	v_mov_b32_e32 v70, v2
	v_mov_b32_e32 v68, v2
	s_delay_alu instid0(VALU_DEP_3) | instskip(SKIP_2) | instid1(VALU_DEP_2)
	v_lshlrev_b64_e32 v[3:4], 3, v[1:2]
	v_lshlrev_b32_e32 v1, 3, v5
	s_wait_kmcnt 0x0
	v_add_co_u32 v3, vcc_lo, s0, v3
	s_delay_alu instid0(VALU_DEP_1) | instskip(NEXT) | instid1(VALU_DEP_2)
	v_add_co_ci_u32_e64 v4, null, s1, v4, vcc_lo
	v_add_co_u32 v3, vcc_lo, v3, v1
	s_wait_alu 0xfffd
	s_delay_alu instid0(VALU_DEP_2)
	v_add_co_ci_u32_e64 v4, null, 0, v4, vcc_lo
	v_or_b32_e32 v1, s4, v0
	s_clause 0x1f
	global_load_b64 v[5:6], v[3:4], off
	global_load_b64 v[7:8], v[3:4], off offset:512
	global_load_b64 v[9:10], v[3:4], off offset:1024
	;; [unrolled: 1-line block ×31, first 2 shown]
	v_or_b32_e32 v67, 0x1d00, v1
	v_or_b32_e32 v69, 0x1e00, v1
	v_lshlrev_b64_e32 v[71:72], 3, v[1:2]
	v_or_b32_e32 v1, 0x1f00, v1
	s_delay_alu instid0(VALU_DEP_4) | instskip(NEXT) | instid1(VALU_DEP_4)
	v_lshlrev_b64_e32 v[67:68], 3, v[67:68]
	v_lshlrev_b64_e32 v[69:70], 3, v[69:70]
	s_delay_alu instid0(VALU_DEP_3)
	v_lshlrev_b64_e32 v[0:1], 3, v[1:2]
	v_add_co_u32 v71, vcc_lo, s2, v71
	s_wait_alu 0xfffd
	v_add_co_ci_u32_e64 v72, null, s3, v72, vcc_lo
	v_add_co_u32 v67, vcc_lo, s2, v67
	s_wait_alu 0xfffd
	v_add_co_ci_u32_e64 v68, null, s3, v68, vcc_lo
	;; [unrolled: 3-line block ×4, first 2 shown]
	s_wait_loadcnt 0x1f
	global_store_b64 v[71:72], v[5:6], off
	s_wait_loadcnt 0x1e
	global_store_b64 v[71:72], v[7:8], off offset:2048
	s_wait_loadcnt 0x1d
	global_store_b64 v[71:72], v[9:10], off offset:4096
	;; [unrolled: 2-line block ×28, first 2 shown]
	s_wait_loadcnt 0x2
	global_store_b64 v[67:68], v[63:64], off
	s_wait_loadcnt 0x1
	global_store_b64 v[69:70], v[65:66], off
	;; [unrolled: 2-line block ×3, first 2 shown]
	s_endpgm
	.section	.rodata,"a",@progbits
	.p2align	6, 0x0
	.amdhsa_kernel _Z16warp_load_kernelILj256ELj32ELj64ELN6hipcub17WarpLoadAlgorithmE1EdEvPT3_S3_
		.amdhsa_group_segment_fixed_size 0
		.amdhsa_private_segment_fixed_size 0
		.amdhsa_kernarg_size 16
		.amdhsa_user_sgpr_count 2
		.amdhsa_user_sgpr_dispatch_ptr 0
		.amdhsa_user_sgpr_queue_ptr 0
		.amdhsa_user_sgpr_kernarg_segment_ptr 1
		.amdhsa_user_sgpr_dispatch_id 0
		.amdhsa_user_sgpr_private_segment_size 0
		.amdhsa_wavefront_size32 1
		.amdhsa_uses_dynamic_stack 0
		.amdhsa_enable_private_segment 0
		.amdhsa_system_sgpr_workgroup_id_x 1
		.amdhsa_system_sgpr_workgroup_id_y 0
		.amdhsa_system_sgpr_workgroup_id_z 0
		.amdhsa_system_sgpr_workgroup_info 0
		.amdhsa_system_vgpr_workitem_id 0
		.amdhsa_next_free_vgpr 73
		.amdhsa_next_free_sgpr 5
		.amdhsa_reserve_vcc 1
		.amdhsa_float_round_mode_32 0
		.amdhsa_float_round_mode_16_64 0
		.amdhsa_float_denorm_mode_32 3
		.amdhsa_float_denorm_mode_16_64 3
		.amdhsa_fp16_overflow 0
		.amdhsa_workgroup_processor_mode 1
		.amdhsa_memory_ordered 1
		.amdhsa_forward_progress 1
		.amdhsa_inst_pref_size 9
		.amdhsa_round_robin_scheduling 0
		.amdhsa_exception_fp_ieee_invalid_op 0
		.amdhsa_exception_fp_denorm_src 0
		.amdhsa_exception_fp_ieee_div_zero 0
		.amdhsa_exception_fp_ieee_overflow 0
		.amdhsa_exception_fp_ieee_underflow 0
		.amdhsa_exception_fp_ieee_inexact 0
		.amdhsa_exception_int_div_zero 0
	.end_amdhsa_kernel
	.section	.text._Z16warp_load_kernelILj256ELj32ELj64ELN6hipcub17WarpLoadAlgorithmE1EdEvPT3_S3_,"axG",@progbits,_Z16warp_load_kernelILj256ELj32ELj64ELN6hipcub17WarpLoadAlgorithmE1EdEvPT3_S3_,comdat
.Lfunc_end68:
	.size	_Z16warp_load_kernelILj256ELj32ELj64ELN6hipcub17WarpLoadAlgorithmE1EdEvPT3_S3_, .Lfunc_end68-_Z16warp_load_kernelILj256ELj32ELj64ELN6hipcub17WarpLoadAlgorithmE1EdEvPT3_S3_
                                        ; -- End function
	.set _Z16warp_load_kernelILj256ELj32ELj64ELN6hipcub17WarpLoadAlgorithmE1EdEvPT3_S3_.num_vgpr, 73
	.set _Z16warp_load_kernelILj256ELj32ELj64ELN6hipcub17WarpLoadAlgorithmE1EdEvPT3_S3_.num_agpr, 0
	.set _Z16warp_load_kernelILj256ELj32ELj64ELN6hipcub17WarpLoadAlgorithmE1EdEvPT3_S3_.numbered_sgpr, 5
	.set _Z16warp_load_kernelILj256ELj32ELj64ELN6hipcub17WarpLoadAlgorithmE1EdEvPT3_S3_.num_named_barrier, 0
	.set _Z16warp_load_kernelILj256ELj32ELj64ELN6hipcub17WarpLoadAlgorithmE1EdEvPT3_S3_.private_seg_size, 0
	.set _Z16warp_load_kernelILj256ELj32ELj64ELN6hipcub17WarpLoadAlgorithmE1EdEvPT3_S3_.uses_vcc, 1
	.set _Z16warp_load_kernelILj256ELj32ELj64ELN6hipcub17WarpLoadAlgorithmE1EdEvPT3_S3_.uses_flat_scratch, 0
	.set _Z16warp_load_kernelILj256ELj32ELj64ELN6hipcub17WarpLoadAlgorithmE1EdEvPT3_S3_.has_dyn_sized_stack, 0
	.set _Z16warp_load_kernelILj256ELj32ELj64ELN6hipcub17WarpLoadAlgorithmE1EdEvPT3_S3_.has_recursion, 0
	.set _Z16warp_load_kernelILj256ELj32ELj64ELN6hipcub17WarpLoadAlgorithmE1EdEvPT3_S3_.has_indirect_call, 0
	.section	.AMDGPU.csdata,"",@progbits
; Kernel info:
; codeLenInByte = 1148
; TotalNumSgprs: 7
; NumVgprs: 73
; ScratchSize: 0
; MemoryBound: 1
; FloatMode: 240
; IeeeMode: 1
; LDSByteSize: 0 bytes/workgroup (compile time only)
; SGPRBlocks: 0
; VGPRBlocks: 9
; NumSGPRsForWavesPerEU: 7
; NumVGPRsForWavesPerEU: 73
; Occupancy: 16
; WaveLimiterHint : 1
; COMPUTE_PGM_RSRC2:SCRATCH_EN: 0
; COMPUTE_PGM_RSRC2:USER_SGPR: 2
; COMPUTE_PGM_RSRC2:TRAP_HANDLER: 0
; COMPUTE_PGM_RSRC2:TGID_X_EN: 1
; COMPUTE_PGM_RSRC2:TGID_Y_EN: 0
; COMPUTE_PGM_RSRC2:TGID_Z_EN: 0
; COMPUTE_PGM_RSRC2:TIDIG_COMP_CNT: 0
	.section	.text._Z16warp_load_kernelILj256ELj32ELj64ELN6hipcub17WarpLoadAlgorithmE2EdEvPT3_S3_,"axG",@progbits,_Z16warp_load_kernelILj256ELj32ELj64ELN6hipcub17WarpLoadAlgorithmE2EdEvPT3_S3_,comdat
	.protected	_Z16warp_load_kernelILj256ELj32ELj64ELN6hipcub17WarpLoadAlgorithmE2EdEvPT3_S3_ ; -- Begin function _Z16warp_load_kernelILj256ELj32ELj64ELN6hipcub17WarpLoadAlgorithmE2EdEvPT3_S3_
	.globl	_Z16warp_load_kernelILj256ELj32ELj64ELN6hipcub17WarpLoadAlgorithmE2EdEvPT3_S3_
	.p2align	8
	.type	_Z16warp_load_kernelILj256ELj32ELj64ELN6hipcub17WarpLoadAlgorithmE2EdEvPT3_S3_,@function
_Z16warp_load_kernelILj256ELj32ELj64ELN6hipcub17WarpLoadAlgorithmE2EdEvPT3_S3_: ; @_Z16warp_load_kernelILj256ELj32ELj64ELN6hipcub17WarpLoadAlgorithmE2EdEvPT3_S3_
; %bb.0:
	s_load_b128 s[0:3], s[0:1], 0x0
	v_dual_mov_b32 v66, 0 :: v_dual_lshlrev_b32 v1, 5, v0
	s_lshl_b32 s4, ttmp9, 13
	v_mbcnt_lo_u32_b32 v3, -1, 0
	s_delay_alu instid0(VALU_DEP_2) | instskip(NEXT) | instid1(VALU_DEP_3)
	v_and_or_b32 v65, 0x1800, v1, s4
	v_mov_b32_e32 v68, v66
	s_delay_alu instid0(VALU_DEP_3) | instskip(NEXT) | instid1(VALU_DEP_3)
	v_dual_mov_b32 v70, v66 :: v_dual_lshlrev_b32 v3, 8, v3
	v_lshlrev_b64_e32 v[1:2], 3, v[65:66]
	v_or_b32_e32 v65, s4, v0
	s_delay_alu instid0(VALU_DEP_1) | instskip(SKIP_4) | instid1(VALU_DEP_1)
	v_or_b32_e32 v67, 0x1d00, v65
	v_or_b32_e32 v69, 0x1e00, v65
	v_lshlrev_b64_e32 v[71:72], 3, v[65:66]
	s_wait_kmcnt 0x0
	v_add_co_u32 v1, vcc_lo, s0, v1
	v_add_co_ci_u32_e64 v2, null, s1, v2, vcc_lo
	v_or_b32_e32 v65, 0x1f00, v65
	s_delay_alu instid0(VALU_DEP_3) | instskip(SKIP_1) | instid1(VALU_DEP_3)
	v_add_co_u32 v61, vcc_lo, v1, v3
	s_wait_alu 0xfffd
	v_add_co_ci_u32_e64 v62, null, 0, v2, vcc_lo
	v_lshlrev_b64_e32 v[67:68], 3, v[67:68]
	v_lshlrev_b64_e32 v[69:70], 3, v[69:70]
	;; [unrolled: 1-line block ×3, first 2 shown]
	s_clause 0xf
	global_load_b128 v[1:4], v[61:62], off
	global_load_b128 v[5:8], v[61:62], off offset:16
	global_load_b128 v[9:12], v[61:62], off offset:32
	;; [unrolled: 1-line block ×15, first 2 shown]
	v_add_co_u32 v71, vcc_lo, s2, v71
	s_wait_alu 0xfffd
	v_add_co_ci_u32_e64 v72, null, s3, v72, vcc_lo
	v_add_co_u32 v67, vcc_lo, s2, v67
	s_wait_alu 0xfffd
	v_add_co_ci_u32_e64 v68, null, s3, v68, vcc_lo
	v_add_co_u32 v69, vcc_lo, s2, v69
	s_wait_alu 0xfffd
	v_add_co_ci_u32_e64 v70, null, s3, v70, vcc_lo
	v_add_co_u32 v65, vcc_lo, s2, v65
	s_wait_alu 0xfffd
	v_add_co_ci_u32_e64 v66, null, s3, v66, vcc_lo
	s_wait_loadcnt 0xf
	s_clause 0x1
	global_store_b64 v[71:72], v[1:2], off
	global_store_b64 v[71:72], v[3:4], off offset:2048
	s_wait_loadcnt 0xe
	s_clause 0x1
	global_store_b64 v[71:72], v[5:6], off offset:4096
	global_store_b64 v[71:72], v[7:8], off offset:6144
	s_wait_loadcnt 0xd
	s_clause 0x1
	global_store_b64 v[71:72], v[9:10], off offset:8192
	;; [unrolled: 4-line block ×14, first 2 shown]
	global_store_b64 v[67:68], v[59:60], off
	s_wait_loadcnt 0x0
	s_clause 0x1
	global_store_b64 v[69:70], v[61:62], off
	global_store_b64 v[65:66], v[63:64], off
	s_endpgm
	.section	.rodata,"a",@progbits
	.p2align	6, 0x0
	.amdhsa_kernel _Z16warp_load_kernelILj256ELj32ELj64ELN6hipcub17WarpLoadAlgorithmE2EdEvPT3_S3_
		.amdhsa_group_segment_fixed_size 0
		.amdhsa_private_segment_fixed_size 0
		.amdhsa_kernarg_size 16
		.amdhsa_user_sgpr_count 2
		.amdhsa_user_sgpr_dispatch_ptr 0
		.amdhsa_user_sgpr_queue_ptr 0
		.amdhsa_user_sgpr_kernarg_segment_ptr 1
		.amdhsa_user_sgpr_dispatch_id 0
		.amdhsa_user_sgpr_private_segment_size 0
		.amdhsa_wavefront_size32 1
		.amdhsa_uses_dynamic_stack 0
		.amdhsa_enable_private_segment 0
		.amdhsa_system_sgpr_workgroup_id_x 1
		.amdhsa_system_sgpr_workgroup_id_y 0
		.amdhsa_system_sgpr_workgroup_id_z 0
		.amdhsa_system_sgpr_workgroup_info 0
		.amdhsa_system_vgpr_workitem_id 0
		.amdhsa_next_free_vgpr 73
		.amdhsa_next_free_sgpr 5
		.amdhsa_reserve_vcc 1
		.amdhsa_float_round_mode_32 0
		.amdhsa_float_round_mode_16_64 0
		.amdhsa_float_denorm_mode_32 3
		.amdhsa_float_denorm_mode_16_64 3
		.amdhsa_fp16_overflow 0
		.amdhsa_workgroup_processor_mode 1
		.amdhsa_memory_ordered 1
		.amdhsa_forward_progress 1
		.amdhsa_inst_pref_size 8
		.amdhsa_round_robin_scheduling 0
		.amdhsa_exception_fp_ieee_invalid_op 0
		.amdhsa_exception_fp_denorm_src 0
		.amdhsa_exception_fp_ieee_div_zero 0
		.amdhsa_exception_fp_ieee_overflow 0
		.amdhsa_exception_fp_ieee_underflow 0
		.amdhsa_exception_fp_ieee_inexact 0
		.amdhsa_exception_int_div_zero 0
	.end_amdhsa_kernel
	.section	.text._Z16warp_load_kernelILj256ELj32ELj64ELN6hipcub17WarpLoadAlgorithmE2EdEvPT3_S3_,"axG",@progbits,_Z16warp_load_kernelILj256ELj32ELj64ELN6hipcub17WarpLoadAlgorithmE2EdEvPT3_S3_,comdat
.Lfunc_end69:
	.size	_Z16warp_load_kernelILj256ELj32ELj64ELN6hipcub17WarpLoadAlgorithmE2EdEvPT3_S3_, .Lfunc_end69-_Z16warp_load_kernelILj256ELj32ELj64ELN6hipcub17WarpLoadAlgorithmE2EdEvPT3_S3_
                                        ; -- End function
	.set _Z16warp_load_kernelILj256ELj32ELj64ELN6hipcub17WarpLoadAlgorithmE2EdEvPT3_S3_.num_vgpr, 73
	.set _Z16warp_load_kernelILj256ELj32ELj64ELN6hipcub17WarpLoadAlgorithmE2EdEvPT3_S3_.num_agpr, 0
	.set _Z16warp_load_kernelILj256ELj32ELj64ELN6hipcub17WarpLoadAlgorithmE2EdEvPT3_S3_.numbered_sgpr, 5
	.set _Z16warp_load_kernelILj256ELj32ELj64ELN6hipcub17WarpLoadAlgorithmE2EdEvPT3_S3_.num_named_barrier, 0
	.set _Z16warp_load_kernelILj256ELj32ELj64ELN6hipcub17WarpLoadAlgorithmE2EdEvPT3_S3_.private_seg_size, 0
	.set _Z16warp_load_kernelILj256ELj32ELj64ELN6hipcub17WarpLoadAlgorithmE2EdEvPT3_S3_.uses_vcc, 1
	.set _Z16warp_load_kernelILj256ELj32ELj64ELN6hipcub17WarpLoadAlgorithmE2EdEvPT3_S3_.uses_flat_scratch, 0
	.set _Z16warp_load_kernelILj256ELj32ELj64ELN6hipcub17WarpLoadAlgorithmE2EdEvPT3_S3_.has_dyn_sized_stack, 0
	.set _Z16warp_load_kernelILj256ELj32ELj64ELN6hipcub17WarpLoadAlgorithmE2EdEvPT3_S3_.has_recursion, 0
	.set _Z16warp_load_kernelILj256ELj32ELj64ELN6hipcub17WarpLoadAlgorithmE2EdEvPT3_S3_.has_indirect_call, 0
	.section	.AMDGPU.csdata,"",@progbits
; Kernel info:
; codeLenInByte = 948
; TotalNumSgprs: 7
; NumVgprs: 73
; ScratchSize: 0
; MemoryBound: 1
; FloatMode: 240
; IeeeMode: 1
; LDSByteSize: 0 bytes/workgroup (compile time only)
; SGPRBlocks: 0
; VGPRBlocks: 9
; NumSGPRsForWavesPerEU: 7
; NumVGPRsForWavesPerEU: 73
; Occupancy: 16
; WaveLimiterHint : 1
; COMPUTE_PGM_RSRC2:SCRATCH_EN: 0
; COMPUTE_PGM_RSRC2:USER_SGPR: 2
; COMPUTE_PGM_RSRC2:TRAP_HANDLER: 0
; COMPUTE_PGM_RSRC2:TGID_X_EN: 1
; COMPUTE_PGM_RSRC2:TGID_Y_EN: 0
; COMPUTE_PGM_RSRC2:TGID_Z_EN: 0
; COMPUTE_PGM_RSRC2:TIDIG_COMP_CNT: 0
	.section	.text._Z16warp_load_kernelILj256ELj64ELj64ELN6hipcub17WarpLoadAlgorithmE0EdEvPT3_S3_,"axG",@progbits,_Z16warp_load_kernelILj256ELj64ELj64ELN6hipcub17WarpLoadAlgorithmE0EdEvPT3_S3_,comdat
	.protected	_Z16warp_load_kernelILj256ELj64ELj64ELN6hipcub17WarpLoadAlgorithmE0EdEvPT3_S3_ ; -- Begin function _Z16warp_load_kernelILj256ELj64ELj64ELN6hipcub17WarpLoadAlgorithmE0EdEvPT3_S3_
	.globl	_Z16warp_load_kernelILj256ELj64ELj64ELN6hipcub17WarpLoadAlgorithmE0EdEvPT3_S3_
	.p2align	8
	.type	_Z16warp_load_kernelILj256ELj64ELj64ELN6hipcub17WarpLoadAlgorithmE0EdEvPT3_S3_,@function
_Z16warp_load_kernelILj256ELj64ELj64ELN6hipcub17WarpLoadAlgorithmE0EdEvPT3_S3_: ; @_Z16warp_load_kernelILj256ELj64ELj64ELN6hipcub17WarpLoadAlgorithmE0EdEvPT3_S3_
; %bb.0:
	s_load_b128 s[0:3], s[0:1], 0x0
	v_dual_mov_b32 v130, 0 :: v_dual_lshlrev_b32 v1, 6, v0
	s_lshl_b32 s4, ttmp9, 14
	v_mbcnt_lo_u32_b32 v3, -1, 0
	s_delay_alu instid0(VALU_DEP_2) | instskip(NEXT) | instid1(VALU_DEP_3)
	v_and_or_b32 v129, 0x3000, v1, s4
	v_mov_b32_e32 v132, v130
	s_delay_alu instid0(VALU_DEP_3) | instskip(NEXT) | instid1(VALU_DEP_3)
	v_dual_mov_b32 v134, v130 :: v_dual_lshlrev_b32 v3, 9, v3
	v_lshlrev_b64_e32 v[1:2], 3, v[129:130]
	v_or_b32_e32 v129, s4, v0
	s_delay_alu instid0(VALU_DEP_1) | instskip(SKIP_4) | instid1(VALU_DEP_1)
	v_or_b32_e32 v131, 0x3d00, v129
	v_or_b32_e32 v133, 0x3e00, v129
	v_lshlrev_b64_e32 v[135:136], 3, v[129:130]
	s_wait_kmcnt 0x0
	v_add_co_u32 v1, vcc_lo, s0, v1
	v_add_co_ci_u32_e64 v2, null, s1, v2, vcc_lo
	v_or_b32_e32 v129, 0x3f00, v129
	s_delay_alu instid0(VALU_DEP_3) | instskip(SKIP_1) | instid1(VALU_DEP_3)
	v_add_co_u32 v125, vcc_lo, v1, v3
	s_wait_alu 0xfffd
	v_add_co_ci_u32_e64 v126, null, 0, v2, vcc_lo
	v_lshlrev_b64_e32 v[131:132], 3, v[131:132]
	v_lshlrev_b64_e32 v[133:134], 3, v[133:134]
	;; [unrolled: 1-line block ×3, first 2 shown]
	s_clause 0x1f
	global_load_b128 v[1:4], v[125:126], off
	global_load_b128 v[5:8], v[125:126], off offset:16
	global_load_b128 v[9:12], v[125:126], off offset:32
	;; [unrolled: 1-line block ×31, first 2 shown]
	v_add_co_u32 v135, vcc_lo, s2, v135
	s_wait_alu 0xfffd
	v_add_co_ci_u32_e64 v136, null, s3, v136, vcc_lo
	v_add_co_u32 v131, vcc_lo, s2, v131
	s_wait_alu 0xfffd
	v_add_co_ci_u32_e64 v132, null, s3, v132, vcc_lo
	v_add_co_u32 v133, vcc_lo, s2, v133
	s_wait_alu 0xfffd
	v_add_co_ci_u32_e64 v134, null, s3, v134, vcc_lo
	v_add_co_u32 v129, vcc_lo, s2, v129
	s_wait_alu 0xfffd
	v_add_co_ci_u32_e64 v130, null, s3, v130, vcc_lo
	s_wait_loadcnt 0x1f
	s_clause 0x1
	global_store_b64 v[135:136], v[1:2], off
	global_store_b64 v[135:136], v[3:4], off offset:2048
	s_wait_loadcnt 0x1e
	s_clause 0x1
	global_store_b64 v[135:136], v[5:6], off offset:4096
	global_store_b64 v[135:136], v[7:8], off offset:6144
	s_wait_loadcnt 0x1d
	s_clause 0x1
	global_store_b64 v[135:136], v[9:10], off offset:8192
	;; [unrolled: 4-line block ×30, first 2 shown]
	global_store_b64 v[131:132], v[123:124], off
	s_wait_loadcnt 0x0
	s_clause 0x1
	global_store_b64 v[133:134], v[125:126], off
	global_store_b64 v[129:130], v[127:128], off
	s_nop 0
	s_sendmsg sendmsg(MSG_DEALLOC_VGPRS)
	s_endpgm
	.section	.rodata,"a",@progbits
	.p2align	6, 0x0
	.amdhsa_kernel _Z16warp_load_kernelILj256ELj64ELj64ELN6hipcub17WarpLoadAlgorithmE0EdEvPT3_S3_
		.amdhsa_group_segment_fixed_size 0
		.amdhsa_private_segment_fixed_size 0
		.amdhsa_kernarg_size 16
		.amdhsa_user_sgpr_count 2
		.amdhsa_user_sgpr_dispatch_ptr 0
		.amdhsa_user_sgpr_queue_ptr 0
		.amdhsa_user_sgpr_kernarg_segment_ptr 1
		.amdhsa_user_sgpr_dispatch_id 0
		.amdhsa_user_sgpr_private_segment_size 0
		.amdhsa_wavefront_size32 1
		.amdhsa_uses_dynamic_stack 0
		.amdhsa_enable_private_segment 0
		.amdhsa_system_sgpr_workgroup_id_x 1
		.amdhsa_system_sgpr_workgroup_id_y 0
		.amdhsa_system_sgpr_workgroup_id_z 0
		.amdhsa_system_sgpr_workgroup_info 0
		.amdhsa_system_vgpr_workitem_id 0
		.amdhsa_next_free_vgpr 137
		.amdhsa_next_free_sgpr 5
		.amdhsa_reserve_vcc 1
		.amdhsa_float_round_mode_32 0
		.amdhsa_float_round_mode_16_64 0
		.amdhsa_float_denorm_mode_32 3
		.amdhsa_float_denorm_mode_16_64 3
		.amdhsa_fp16_overflow 0
		.amdhsa_workgroup_processor_mode 1
		.amdhsa_memory_ordered 1
		.amdhsa_forward_progress 1
		.amdhsa_inst_pref_size 13
		.amdhsa_round_robin_scheduling 0
		.amdhsa_exception_fp_ieee_invalid_op 0
		.amdhsa_exception_fp_denorm_src 0
		.amdhsa_exception_fp_ieee_div_zero 0
		.amdhsa_exception_fp_ieee_overflow 0
		.amdhsa_exception_fp_ieee_underflow 0
		.amdhsa_exception_fp_ieee_inexact 0
		.amdhsa_exception_int_div_zero 0
	.end_amdhsa_kernel
	.section	.text._Z16warp_load_kernelILj256ELj64ELj64ELN6hipcub17WarpLoadAlgorithmE0EdEvPT3_S3_,"axG",@progbits,_Z16warp_load_kernelILj256ELj64ELj64ELN6hipcub17WarpLoadAlgorithmE0EdEvPT3_S3_,comdat
.Lfunc_end70:
	.size	_Z16warp_load_kernelILj256ELj64ELj64ELN6hipcub17WarpLoadAlgorithmE0EdEvPT3_S3_, .Lfunc_end70-_Z16warp_load_kernelILj256ELj64ELj64ELN6hipcub17WarpLoadAlgorithmE0EdEvPT3_S3_
                                        ; -- End function
	.set _Z16warp_load_kernelILj256ELj64ELj64ELN6hipcub17WarpLoadAlgorithmE0EdEvPT3_S3_.num_vgpr, 137
	.set _Z16warp_load_kernelILj256ELj64ELj64ELN6hipcub17WarpLoadAlgorithmE0EdEvPT3_S3_.num_agpr, 0
	.set _Z16warp_load_kernelILj256ELj64ELj64ELN6hipcub17WarpLoadAlgorithmE0EdEvPT3_S3_.numbered_sgpr, 5
	.set _Z16warp_load_kernelILj256ELj64ELj64ELN6hipcub17WarpLoadAlgorithmE0EdEvPT3_S3_.num_named_barrier, 0
	.set _Z16warp_load_kernelILj256ELj64ELj64ELN6hipcub17WarpLoadAlgorithmE0EdEvPT3_S3_.private_seg_size, 0
	.set _Z16warp_load_kernelILj256ELj64ELj64ELN6hipcub17WarpLoadAlgorithmE0EdEvPT3_S3_.uses_vcc, 1
	.set _Z16warp_load_kernelILj256ELj64ELj64ELN6hipcub17WarpLoadAlgorithmE0EdEvPT3_S3_.uses_flat_scratch, 0
	.set _Z16warp_load_kernelILj256ELj64ELj64ELN6hipcub17WarpLoadAlgorithmE0EdEvPT3_S3_.has_dyn_sized_stack, 0
	.set _Z16warp_load_kernelILj256ELj64ELj64ELN6hipcub17WarpLoadAlgorithmE0EdEvPT3_S3_.has_recursion, 0
	.set _Z16warp_load_kernelILj256ELj64ELj64ELN6hipcub17WarpLoadAlgorithmE0EdEvPT3_S3_.has_indirect_call, 0
	.section	.AMDGPU.csdata,"",@progbits
; Kernel info:
; codeLenInByte = 1660
; TotalNumSgprs: 7
; NumVgprs: 137
; ScratchSize: 0
; MemoryBound: 1
; FloatMode: 240
; IeeeMode: 1
; LDSByteSize: 0 bytes/workgroup (compile time only)
; SGPRBlocks: 0
; VGPRBlocks: 17
; NumSGPRsForWavesPerEU: 7
; NumVGPRsForWavesPerEU: 137
; Occupancy: 10
; WaveLimiterHint : 1
; COMPUTE_PGM_RSRC2:SCRATCH_EN: 0
; COMPUTE_PGM_RSRC2:USER_SGPR: 2
; COMPUTE_PGM_RSRC2:TRAP_HANDLER: 0
; COMPUTE_PGM_RSRC2:TGID_X_EN: 1
; COMPUTE_PGM_RSRC2:TGID_Y_EN: 0
; COMPUTE_PGM_RSRC2:TGID_Z_EN: 0
; COMPUTE_PGM_RSRC2:TIDIG_COMP_CNT: 0
	.section	.text._Z16warp_load_kernelILj256ELj64ELj64ELN6hipcub17WarpLoadAlgorithmE1EdEvPT3_S3_,"axG",@progbits,_Z16warp_load_kernelILj256ELj64ELj64ELN6hipcub17WarpLoadAlgorithmE1EdEvPT3_S3_,comdat
	.protected	_Z16warp_load_kernelILj256ELj64ELj64ELN6hipcub17WarpLoadAlgorithmE1EdEvPT3_S3_ ; -- Begin function _Z16warp_load_kernelILj256ELj64ELj64ELN6hipcub17WarpLoadAlgorithmE1EdEvPT3_S3_
	.globl	_Z16warp_load_kernelILj256ELj64ELj64ELN6hipcub17WarpLoadAlgorithmE1EdEvPT3_S3_
	.p2align	8
	.type	_Z16warp_load_kernelILj256ELj64ELj64ELN6hipcub17WarpLoadAlgorithmE1EdEvPT3_S3_,@function
_Z16warp_load_kernelILj256ELj64ELj64ELN6hipcub17WarpLoadAlgorithmE1EdEvPT3_S3_: ; @_Z16warp_load_kernelILj256ELj64ELj64ELN6hipcub17WarpLoadAlgorithmE1EdEvPT3_S3_
; %bb.0:
	s_load_b128 s[0:3], s[0:1], 0x0
	v_dual_mov_b32 v2, 0 :: v_dual_lshlrev_b32 v1, 6, v0
	s_lshl_b32 s4, ttmp9, 14
	v_mbcnt_lo_u32_b32 v5, -1, 0
	s_delay_alu instid0(VALU_DEP_2) | instskip(NEXT) | instid1(VALU_DEP_3)
	v_and_or_b32 v1, 0x3000, v1, s4
	v_mov_b32_e32 v134, v2
	v_mov_b32_e32 v132, v2
	s_delay_alu instid0(VALU_DEP_3) | instskip(SKIP_2) | instid1(VALU_DEP_2)
	v_lshlrev_b64_e32 v[3:4], 3, v[1:2]
	v_lshlrev_b32_e32 v1, 3, v5
	s_wait_kmcnt 0x0
	v_add_co_u32 v3, vcc_lo, s0, v3
	s_delay_alu instid0(VALU_DEP_1) | instskip(NEXT) | instid1(VALU_DEP_2)
	v_add_co_ci_u32_e64 v4, null, s1, v4, vcc_lo
	v_add_co_u32 v3, vcc_lo, v3, v1
	s_wait_alu 0xfffd
	s_delay_alu instid0(VALU_DEP_2)
	v_add_co_ci_u32_e64 v4, null, 0, v4, vcc_lo
	v_or_b32_e32 v1, s4, v0
	s_clause 0x1f
	global_load_b64 v[5:6], v[3:4], off
	global_load_b64 v[7:8], v[3:4], off offset:512
	global_load_b64 v[9:10], v[3:4], off offset:1024
	;; [unrolled: 1-line block ×31, first 2 shown]
	s_clause 0x1f
	global_load_b64 v[69:70], v[3:4], off offset:16384
	global_load_b64 v[71:72], v[3:4], off offset:16896
	;; [unrolled: 1-line block ×32, first 2 shown]
	v_or_b32_e32 v131, 0x3d00, v1
	v_or_b32_e32 v133, 0x3e00, v1
	v_lshlrev_b64_e32 v[135:136], 3, v[1:2]
	v_or_b32_e32 v1, 0x3f00, v1
	s_delay_alu instid0(VALU_DEP_4) | instskip(NEXT) | instid1(VALU_DEP_4)
	v_lshlrev_b64_e32 v[131:132], 3, v[131:132]
	v_lshlrev_b64_e32 v[133:134], 3, v[133:134]
	s_delay_alu instid0(VALU_DEP_3)
	v_lshlrev_b64_e32 v[0:1], 3, v[1:2]
	v_add_co_u32 v135, vcc_lo, s2, v135
	s_wait_alu 0xfffd
	v_add_co_ci_u32_e64 v136, null, s3, v136, vcc_lo
	v_add_co_u32 v131, vcc_lo, s2, v131
	s_wait_alu 0xfffd
	v_add_co_ci_u32_e64 v132, null, s3, v132, vcc_lo
	;; [unrolled: 3-line block ×4, first 2 shown]
	s_wait_loadcnt 0x3e
	s_clause 0x1
	global_store_b64 v[135:136], v[5:6], off
	global_store_b64 v[135:136], v[7:8], off offset:2048
	s_wait_loadcnt 0x3d
	global_store_b64 v[135:136], v[9:10], off offset:4096
	s_wait_loadcnt 0x3c
	;; [unrolled: 2-line block ×60, first 2 shown]
	global_store_b64 v[131:132], v[127:128], off
	s_wait_loadcnt 0x1
	global_store_b64 v[133:134], v[129:130], off
	s_wait_loadcnt 0x0
	global_store_b64 v[0:1], v[3:4], off
	s_nop 0
	s_sendmsg sendmsg(MSG_DEALLOC_VGPRS)
	s_endpgm
	.section	.rodata,"a",@progbits
	.p2align	6, 0x0
	.amdhsa_kernel _Z16warp_load_kernelILj256ELj64ELj64ELN6hipcub17WarpLoadAlgorithmE1EdEvPT3_S3_
		.amdhsa_group_segment_fixed_size 0
		.amdhsa_private_segment_fixed_size 0
		.amdhsa_kernarg_size 16
		.amdhsa_user_sgpr_count 2
		.amdhsa_user_sgpr_dispatch_ptr 0
		.amdhsa_user_sgpr_queue_ptr 0
		.amdhsa_user_sgpr_kernarg_segment_ptr 1
		.amdhsa_user_sgpr_dispatch_id 0
		.amdhsa_user_sgpr_private_segment_size 0
		.amdhsa_wavefront_size32 1
		.amdhsa_uses_dynamic_stack 0
		.amdhsa_enable_private_segment 0
		.amdhsa_system_sgpr_workgroup_id_x 1
		.amdhsa_system_sgpr_workgroup_id_y 0
		.amdhsa_system_sgpr_workgroup_id_z 0
		.amdhsa_system_sgpr_workgroup_info 0
		.amdhsa_system_vgpr_workitem_id 0
		.amdhsa_next_free_vgpr 137
		.amdhsa_next_free_sgpr 5
		.amdhsa_reserve_vcc 1
		.amdhsa_float_round_mode_32 0
		.amdhsa_float_round_mode_16_64 0
		.amdhsa_float_denorm_mode_32 3
		.amdhsa_float_denorm_mode_16_64 3
		.amdhsa_fp16_overflow 0
		.amdhsa_workgroup_processor_mode 1
		.amdhsa_memory_ordered 1
		.amdhsa_forward_progress 1
		.amdhsa_inst_pref_size 17
		.amdhsa_round_robin_scheduling 0
		.amdhsa_exception_fp_ieee_invalid_op 0
		.amdhsa_exception_fp_denorm_src 0
		.amdhsa_exception_fp_ieee_div_zero 0
		.amdhsa_exception_fp_ieee_overflow 0
		.amdhsa_exception_fp_ieee_underflow 0
		.amdhsa_exception_fp_ieee_inexact 0
		.amdhsa_exception_int_div_zero 0
	.end_amdhsa_kernel
	.section	.text._Z16warp_load_kernelILj256ELj64ELj64ELN6hipcub17WarpLoadAlgorithmE1EdEvPT3_S3_,"axG",@progbits,_Z16warp_load_kernelILj256ELj64ELj64ELN6hipcub17WarpLoadAlgorithmE1EdEvPT3_S3_,comdat
.Lfunc_end71:
	.size	_Z16warp_load_kernelILj256ELj64ELj64ELN6hipcub17WarpLoadAlgorithmE1EdEvPT3_S3_, .Lfunc_end71-_Z16warp_load_kernelILj256ELj64ELj64ELN6hipcub17WarpLoadAlgorithmE1EdEvPT3_S3_
                                        ; -- End function
	.set _Z16warp_load_kernelILj256ELj64ELj64ELN6hipcub17WarpLoadAlgorithmE1EdEvPT3_S3_.num_vgpr, 137
	.set _Z16warp_load_kernelILj256ELj64ELj64ELN6hipcub17WarpLoadAlgorithmE1EdEvPT3_S3_.num_agpr, 0
	.set _Z16warp_load_kernelILj256ELj64ELj64ELN6hipcub17WarpLoadAlgorithmE1EdEvPT3_S3_.numbered_sgpr, 5
	.set _Z16warp_load_kernelILj256ELj64ELj64ELN6hipcub17WarpLoadAlgorithmE1EdEvPT3_S3_.num_named_barrier, 0
	.set _Z16warp_load_kernelILj256ELj64ELj64ELN6hipcub17WarpLoadAlgorithmE1EdEvPT3_S3_.private_seg_size, 0
	.set _Z16warp_load_kernelILj256ELj64ELj64ELN6hipcub17WarpLoadAlgorithmE1EdEvPT3_S3_.uses_vcc, 1
	.set _Z16warp_load_kernelILj256ELj64ELj64ELN6hipcub17WarpLoadAlgorithmE1EdEvPT3_S3_.uses_flat_scratch, 0
	.set _Z16warp_load_kernelILj256ELj64ELj64ELN6hipcub17WarpLoadAlgorithmE1EdEvPT3_S3_.has_dyn_sized_stack, 0
	.set _Z16warp_load_kernelILj256ELj64ELj64ELN6hipcub17WarpLoadAlgorithmE1EdEvPT3_S3_.has_recursion, 0
	.set _Z16warp_load_kernelILj256ELj64ELj64ELN6hipcub17WarpLoadAlgorithmE1EdEvPT3_S3_.has_indirect_call, 0
	.section	.AMDGPU.csdata,"",@progbits
; Kernel info:
; codeLenInByte = 2056
; TotalNumSgprs: 7
; NumVgprs: 137
; ScratchSize: 0
; MemoryBound: 1
; FloatMode: 240
; IeeeMode: 1
; LDSByteSize: 0 bytes/workgroup (compile time only)
; SGPRBlocks: 0
; VGPRBlocks: 17
; NumSGPRsForWavesPerEU: 7
; NumVGPRsForWavesPerEU: 137
; Occupancy: 10
; WaveLimiterHint : 1
; COMPUTE_PGM_RSRC2:SCRATCH_EN: 0
; COMPUTE_PGM_RSRC2:USER_SGPR: 2
; COMPUTE_PGM_RSRC2:TRAP_HANDLER: 0
; COMPUTE_PGM_RSRC2:TGID_X_EN: 1
; COMPUTE_PGM_RSRC2:TGID_Y_EN: 0
; COMPUTE_PGM_RSRC2:TGID_Z_EN: 0
; COMPUTE_PGM_RSRC2:TIDIG_COMP_CNT: 0
	.section	.text._Z16warp_load_kernelILj256ELj64ELj64ELN6hipcub17WarpLoadAlgorithmE2EdEvPT3_S3_,"axG",@progbits,_Z16warp_load_kernelILj256ELj64ELj64ELN6hipcub17WarpLoadAlgorithmE2EdEvPT3_S3_,comdat
	.protected	_Z16warp_load_kernelILj256ELj64ELj64ELN6hipcub17WarpLoadAlgorithmE2EdEvPT3_S3_ ; -- Begin function _Z16warp_load_kernelILj256ELj64ELj64ELN6hipcub17WarpLoadAlgorithmE2EdEvPT3_S3_
	.globl	_Z16warp_load_kernelILj256ELj64ELj64ELN6hipcub17WarpLoadAlgorithmE2EdEvPT3_S3_
	.p2align	8
	.type	_Z16warp_load_kernelILj256ELj64ELj64ELN6hipcub17WarpLoadAlgorithmE2EdEvPT3_S3_,@function
_Z16warp_load_kernelILj256ELj64ELj64ELN6hipcub17WarpLoadAlgorithmE2EdEvPT3_S3_: ; @_Z16warp_load_kernelILj256ELj64ELj64ELN6hipcub17WarpLoadAlgorithmE2EdEvPT3_S3_
; %bb.0:
	s_load_b128 s[0:3], s[0:1], 0x0
	v_dual_mov_b32 v130, 0 :: v_dual_lshlrev_b32 v1, 6, v0
	s_lshl_b32 s4, ttmp9, 14
	v_mbcnt_lo_u32_b32 v3, -1, 0
	s_delay_alu instid0(VALU_DEP_2) | instskip(NEXT) | instid1(VALU_DEP_3)
	v_and_or_b32 v129, 0x3000, v1, s4
	v_mov_b32_e32 v132, v130
	s_delay_alu instid0(VALU_DEP_3) | instskip(NEXT) | instid1(VALU_DEP_3)
	v_dual_mov_b32 v134, v130 :: v_dual_lshlrev_b32 v3, 9, v3
	v_lshlrev_b64_e32 v[1:2], 3, v[129:130]
	v_or_b32_e32 v129, s4, v0
	s_delay_alu instid0(VALU_DEP_1) | instskip(SKIP_4) | instid1(VALU_DEP_1)
	v_or_b32_e32 v131, 0x3d00, v129
	v_or_b32_e32 v133, 0x3e00, v129
	v_lshlrev_b64_e32 v[135:136], 3, v[129:130]
	s_wait_kmcnt 0x0
	v_add_co_u32 v1, vcc_lo, s0, v1
	v_add_co_ci_u32_e64 v2, null, s1, v2, vcc_lo
	v_or_b32_e32 v129, 0x3f00, v129
	s_delay_alu instid0(VALU_DEP_3) | instskip(SKIP_1) | instid1(VALU_DEP_3)
	v_add_co_u32 v125, vcc_lo, v1, v3
	s_wait_alu 0xfffd
	v_add_co_ci_u32_e64 v126, null, 0, v2, vcc_lo
	v_lshlrev_b64_e32 v[131:132], 3, v[131:132]
	v_lshlrev_b64_e32 v[133:134], 3, v[133:134]
	;; [unrolled: 1-line block ×3, first 2 shown]
	s_clause 0x1f
	global_load_b128 v[1:4], v[125:126], off
	global_load_b128 v[5:8], v[125:126], off offset:16
	global_load_b128 v[9:12], v[125:126], off offset:32
	;; [unrolled: 1-line block ×31, first 2 shown]
	v_add_co_u32 v135, vcc_lo, s2, v135
	s_wait_alu 0xfffd
	v_add_co_ci_u32_e64 v136, null, s3, v136, vcc_lo
	v_add_co_u32 v131, vcc_lo, s2, v131
	s_wait_alu 0xfffd
	v_add_co_ci_u32_e64 v132, null, s3, v132, vcc_lo
	;; [unrolled: 3-line block ×4, first 2 shown]
	s_wait_loadcnt 0x1f
	s_clause 0x1
	global_store_b64 v[135:136], v[1:2], off
	global_store_b64 v[135:136], v[3:4], off offset:2048
	s_wait_loadcnt 0x1e
	s_clause 0x1
	global_store_b64 v[135:136], v[5:6], off offset:4096
	global_store_b64 v[135:136], v[7:8], off offset:6144
	s_wait_loadcnt 0x1d
	s_clause 0x1
	global_store_b64 v[135:136], v[9:10], off offset:8192
	;; [unrolled: 4-line block ×30, first 2 shown]
	global_store_b64 v[131:132], v[123:124], off
	s_wait_loadcnt 0x0
	s_clause 0x1
	global_store_b64 v[133:134], v[125:126], off
	global_store_b64 v[129:130], v[127:128], off
	s_nop 0
	s_sendmsg sendmsg(MSG_DEALLOC_VGPRS)
	s_endpgm
	.section	.rodata,"a",@progbits
	.p2align	6, 0x0
	.amdhsa_kernel _Z16warp_load_kernelILj256ELj64ELj64ELN6hipcub17WarpLoadAlgorithmE2EdEvPT3_S3_
		.amdhsa_group_segment_fixed_size 0
		.amdhsa_private_segment_fixed_size 0
		.amdhsa_kernarg_size 16
		.amdhsa_user_sgpr_count 2
		.amdhsa_user_sgpr_dispatch_ptr 0
		.amdhsa_user_sgpr_queue_ptr 0
		.amdhsa_user_sgpr_kernarg_segment_ptr 1
		.amdhsa_user_sgpr_dispatch_id 0
		.amdhsa_user_sgpr_private_segment_size 0
		.amdhsa_wavefront_size32 1
		.amdhsa_uses_dynamic_stack 0
		.amdhsa_enable_private_segment 0
		.amdhsa_system_sgpr_workgroup_id_x 1
		.amdhsa_system_sgpr_workgroup_id_y 0
		.amdhsa_system_sgpr_workgroup_id_z 0
		.amdhsa_system_sgpr_workgroup_info 0
		.amdhsa_system_vgpr_workitem_id 0
		.amdhsa_next_free_vgpr 137
		.amdhsa_next_free_sgpr 5
		.amdhsa_reserve_vcc 1
		.amdhsa_float_round_mode_32 0
		.amdhsa_float_round_mode_16_64 0
		.amdhsa_float_denorm_mode_32 3
		.amdhsa_float_denorm_mode_16_64 3
		.amdhsa_fp16_overflow 0
		.amdhsa_workgroup_processor_mode 1
		.amdhsa_memory_ordered 1
		.amdhsa_forward_progress 1
		.amdhsa_inst_pref_size 13
		.amdhsa_round_robin_scheduling 0
		.amdhsa_exception_fp_ieee_invalid_op 0
		.amdhsa_exception_fp_denorm_src 0
		.amdhsa_exception_fp_ieee_div_zero 0
		.amdhsa_exception_fp_ieee_overflow 0
		.amdhsa_exception_fp_ieee_underflow 0
		.amdhsa_exception_fp_ieee_inexact 0
		.amdhsa_exception_int_div_zero 0
	.end_amdhsa_kernel
	.section	.text._Z16warp_load_kernelILj256ELj64ELj64ELN6hipcub17WarpLoadAlgorithmE2EdEvPT3_S3_,"axG",@progbits,_Z16warp_load_kernelILj256ELj64ELj64ELN6hipcub17WarpLoadAlgorithmE2EdEvPT3_S3_,comdat
.Lfunc_end72:
	.size	_Z16warp_load_kernelILj256ELj64ELj64ELN6hipcub17WarpLoadAlgorithmE2EdEvPT3_S3_, .Lfunc_end72-_Z16warp_load_kernelILj256ELj64ELj64ELN6hipcub17WarpLoadAlgorithmE2EdEvPT3_S3_
                                        ; -- End function
	.set _Z16warp_load_kernelILj256ELj64ELj64ELN6hipcub17WarpLoadAlgorithmE2EdEvPT3_S3_.num_vgpr, 137
	.set _Z16warp_load_kernelILj256ELj64ELj64ELN6hipcub17WarpLoadAlgorithmE2EdEvPT3_S3_.num_agpr, 0
	.set _Z16warp_load_kernelILj256ELj64ELj64ELN6hipcub17WarpLoadAlgorithmE2EdEvPT3_S3_.numbered_sgpr, 5
	.set _Z16warp_load_kernelILj256ELj64ELj64ELN6hipcub17WarpLoadAlgorithmE2EdEvPT3_S3_.num_named_barrier, 0
	.set _Z16warp_load_kernelILj256ELj64ELj64ELN6hipcub17WarpLoadAlgorithmE2EdEvPT3_S3_.private_seg_size, 0
	.set _Z16warp_load_kernelILj256ELj64ELj64ELN6hipcub17WarpLoadAlgorithmE2EdEvPT3_S3_.uses_vcc, 1
	.set _Z16warp_load_kernelILj256ELj64ELj64ELN6hipcub17WarpLoadAlgorithmE2EdEvPT3_S3_.uses_flat_scratch, 0
	.set _Z16warp_load_kernelILj256ELj64ELj64ELN6hipcub17WarpLoadAlgorithmE2EdEvPT3_S3_.has_dyn_sized_stack, 0
	.set _Z16warp_load_kernelILj256ELj64ELj64ELN6hipcub17WarpLoadAlgorithmE2EdEvPT3_S3_.has_recursion, 0
	.set _Z16warp_load_kernelILj256ELj64ELj64ELN6hipcub17WarpLoadAlgorithmE2EdEvPT3_S3_.has_indirect_call, 0
	.section	.AMDGPU.csdata,"",@progbits
; Kernel info:
; codeLenInByte = 1660
; TotalNumSgprs: 7
; NumVgprs: 137
; ScratchSize: 0
; MemoryBound: 1
; FloatMode: 240
; IeeeMode: 1
; LDSByteSize: 0 bytes/workgroup (compile time only)
; SGPRBlocks: 0
; VGPRBlocks: 17
; NumSGPRsForWavesPerEU: 7
; NumVGPRsForWavesPerEU: 137
; Occupancy: 10
; WaveLimiterHint : 1
; COMPUTE_PGM_RSRC2:SCRATCH_EN: 0
; COMPUTE_PGM_RSRC2:USER_SGPR: 2
; COMPUTE_PGM_RSRC2:TRAP_HANDLER: 0
; COMPUTE_PGM_RSRC2:TGID_X_EN: 1
; COMPUTE_PGM_RSRC2:TGID_Y_EN: 0
; COMPUTE_PGM_RSRC2:TGID_Z_EN: 0
; COMPUTE_PGM_RSRC2:TIDIG_COMP_CNT: 0
	.section	.AMDGPU.gpr_maximums,"",@progbits
	.set amdgpu.max_num_vgpr, 0
	.set amdgpu.max_num_agpr, 0
	.set amdgpu.max_num_sgpr, 0
	.section	.AMDGPU.csdata,"",@progbits
	.type	__hip_cuid_1d35686916754a88,@object ; @__hip_cuid_1d35686916754a88
	.section	.bss,"aw",@nobits
	.globl	__hip_cuid_1d35686916754a88
__hip_cuid_1d35686916754a88:
	.byte	0                               ; 0x0
	.size	__hip_cuid_1d35686916754a88, 1

	.ident	"AMD clang version 22.0.0git (https://github.com/RadeonOpenCompute/llvm-project roc-7.2.4 26084 f58b06dce1f9c15707c5f808fd002e18c2accf7e)"
	.section	".note.GNU-stack","",@progbits
	.addrsig
	.addrsig_sym __hip_cuid_1d35686916754a88
	.amdgpu_metadata
---
amdhsa.kernels:
  - .args:
      - .address_space:  global
        .offset:         0
        .size:           8
        .value_kind:     global_buffer
      - .address_space:  global
        .offset:         8
        .size:           8
        .value_kind:     global_buffer
    .group_segment_fixed_size: 0
    .kernarg_segment_align: 8
    .kernarg_segment_size: 16
    .language:       OpenCL C
    .language_version:
      - 2
      - 0
    .max_flat_workgroup_size: 256
    .name:           _Z16warp_load_kernelILj256ELj4ELj32ELN6hipcub17WarpLoadAlgorithmE0EiEvPT3_S3_
    .private_segment_fixed_size: 0
    .sgpr_count:     7
    .sgpr_spill_count: 0
    .symbol:         _Z16warp_load_kernelILj256ELj4ELj32ELN6hipcub17WarpLoadAlgorithmE0EiEvPT3_S3_.kd
    .uniform_work_group_size: 1
    .uses_dynamic_stack: false
    .vgpr_count:     13
    .vgpr_spill_count: 0
    .wavefront_size: 32
    .workgroup_processor_mode: 1
  - .args:
      - .address_space:  global
        .offset:         0
        .size:           8
        .value_kind:     global_buffer
      - .address_space:  global
        .offset:         8
        .size:           8
        .value_kind:     global_buffer
    .group_segment_fixed_size: 0
    .kernarg_segment_align: 8
    .kernarg_segment_size: 16
    .language:       OpenCL C
    .language_version:
      - 2
      - 0
    .max_flat_workgroup_size: 256
    .name:           _Z16warp_load_kernelILj256ELj4ELj32ELN6hipcub17WarpLoadAlgorithmE1EiEvPT3_S3_
    .private_segment_fixed_size: 0
    .sgpr_count:     7
    .sgpr_spill_count: 0
    .symbol:         _Z16warp_load_kernelILj256ELj4ELj32ELN6hipcub17WarpLoadAlgorithmE1EiEvPT3_S3_.kd
    .uniform_work_group_size: 1
    .uses_dynamic_stack: false
    .vgpr_count:     13
    .vgpr_spill_count: 0
    .wavefront_size: 32
    .workgroup_processor_mode: 1
  - .args:
      - .address_space:  global
        .offset:         0
        .size:           8
        .value_kind:     global_buffer
      - .address_space:  global
        .offset:         8
        .size:           8
        .value_kind:     global_buffer
    .group_segment_fixed_size: 0
    .kernarg_segment_align: 8
    .kernarg_segment_size: 16
    .language:       OpenCL C
    .language_version:
      - 2
      - 0
    .max_flat_workgroup_size: 256
    .name:           _Z16warp_load_kernelILj256ELj4ELj32ELN6hipcub17WarpLoadAlgorithmE2EiEvPT3_S3_
    .private_segment_fixed_size: 0
    .sgpr_count:     7
    .sgpr_spill_count: 0
    .symbol:         _Z16warp_load_kernelILj256ELj4ELj32ELN6hipcub17WarpLoadAlgorithmE2EiEvPT3_S3_.kd
    .uniform_work_group_size: 1
    .uses_dynamic_stack: false
    .vgpr_count:     13
    .vgpr_spill_count: 0
    .wavefront_size: 32
    .workgroup_processor_mode: 1
  - .args:
      - .address_space:  global
        .offset:         0
        .size:           8
        .value_kind:     global_buffer
      - .address_space:  global
        .offset:         8
        .size:           8
        .value_kind:     global_buffer
    .group_segment_fixed_size: 4096
    .kernarg_segment_align: 8
    .kernarg_segment_size: 16
    .language:       OpenCL C
    .language_version:
      - 2
      - 0
    .max_flat_workgroup_size: 256
    .name:           _Z16warp_load_kernelILj256ELj4ELj32ELN6hipcub17WarpLoadAlgorithmE3EiEvPT3_S3_
    .private_segment_fixed_size: 0
    .sgpr_count:     7
    .sgpr_spill_count: 0
    .symbol:         _Z16warp_load_kernelILj256ELj4ELj32ELN6hipcub17WarpLoadAlgorithmE3EiEvPT3_S3_.kd
    .uniform_work_group_size: 1
    .uses_dynamic_stack: false
    .vgpr_count:     16
    .vgpr_spill_count: 0
    .wavefront_size: 32
    .workgroup_processor_mode: 1
  - .args:
      - .address_space:  global
        .offset:         0
        .size:           8
        .value_kind:     global_buffer
      - .address_space:  global
        .offset:         8
        .size:           8
        .value_kind:     global_buffer
    .group_segment_fixed_size: 0
    .kernarg_segment_align: 8
    .kernarg_segment_size: 16
    .language:       OpenCL C
    .language_version:
      - 2
      - 0
    .max_flat_workgroup_size: 256
    .name:           _Z16warp_load_kernelILj256ELj8ELj32ELN6hipcub17WarpLoadAlgorithmE0EiEvPT3_S3_
    .private_segment_fixed_size: 0
    .sgpr_count:     7
    .sgpr_spill_count: 0
    .symbol:         _Z16warp_load_kernelILj256ELj8ELj32ELN6hipcub17WarpLoadAlgorithmE0EiEvPT3_S3_.kd
    .uniform_work_group_size: 1
    .uses_dynamic_stack: false
    .vgpr_count:     17
    .vgpr_spill_count: 0
    .wavefront_size: 32
    .workgroup_processor_mode: 1
  - .args:
      - .address_space:  global
        .offset:         0
        .size:           8
        .value_kind:     global_buffer
      - .address_space:  global
        .offset:         8
        .size:           8
        .value_kind:     global_buffer
    .group_segment_fixed_size: 0
    .kernarg_segment_align: 8
    .kernarg_segment_size: 16
    .language:       OpenCL C
    .language_version:
      - 2
      - 0
    .max_flat_workgroup_size: 256
    .name:           _Z16warp_load_kernelILj256ELj8ELj32ELN6hipcub17WarpLoadAlgorithmE1EiEvPT3_S3_
    .private_segment_fixed_size: 0
    .sgpr_count:     7
    .sgpr_spill_count: 0
    .symbol:         _Z16warp_load_kernelILj256ELj8ELj32ELN6hipcub17WarpLoadAlgorithmE1EiEvPT3_S3_.kd
    .uniform_work_group_size: 1
    .uses_dynamic_stack: false
    .vgpr_count:     17
    .vgpr_spill_count: 0
    .wavefront_size: 32
    .workgroup_processor_mode: 1
  - .args:
      - .address_space:  global
        .offset:         0
        .size:           8
        .value_kind:     global_buffer
      - .address_space:  global
        .offset:         8
        .size:           8
        .value_kind:     global_buffer
    .group_segment_fixed_size: 0
    .kernarg_segment_align: 8
    .kernarg_segment_size: 16
    .language:       OpenCL C
    .language_version:
      - 2
      - 0
    .max_flat_workgroup_size: 256
    .name:           _Z16warp_load_kernelILj256ELj8ELj32ELN6hipcub17WarpLoadAlgorithmE2EiEvPT3_S3_
    .private_segment_fixed_size: 0
    .sgpr_count:     7
    .sgpr_spill_count: 0
    .symbol:         _Z16warp_load_kernelILj256ELj8ELj32ELN6hipcub17WarpLoadAlgorithmE2EiEvPT3_S3_.kd
    .uniform_work_group_size: 1
    .uses_dynamic_stack: false
    .vgpr_count:     17
    .vgpr_spill_count: 0
    .wavefront_size: 32
    .workgroup_processor_mode: 1
  - .args:
      - .address_space:  global
        .offset:         0
        .size:           8
        .value_kind:     global_buffer
      - .address_space:  global
        .offset:         8
        .size:           8
        .value_kind:     global_buffer
    .group_segment_fixed_size: 8192
    .kernarg_segment_align: 8
    .kernarg_segment_size: 16
    .language:       OpenCL C
    .language_version:
      - 2
      - 0
    .max_flat_workgroup_size: 256
    .name:           _Z16warp_load_kernelILj256ELj8ELj32ELN6hipcub17WarpLoadAlgorithmE3EiEvPT3_S3_
    .private_segment_fixed_size: 0
    .sgpr_count:     7
    .sgpr_spill_count: 0
    .symbol:         _Z16warp_load_kernelILj256ELj8ELj32ELN6hipcub17WarpLoadAlgorithmE3EiEvPT3_S3_.kd
    .uniform_work_group_size: 1
    .uses_dynamic_stack: false
    .vgpr_count:     21
    .vgpr_spill_count: 0
    .wavefront_size: 32
    .workgroup_processor_mode: 1
  - .args:
      - .address_space:  global
        .offset:         0
        .size:           8
        .value_kind:     global_buffer
      - .address_space:  global
        .offset:         8
        .size:           8
        .value_kind:     global_buffer
    .group_segment_fixed_size: 0
    .kernarg_segment_align: 8
    .kernarg_segment_size: 16
    .language:       OpenCL C
    .language_version:
      - 2
      - 0
    .max_flat_workgroup_size: 256
    .name:           _Z16warp_load_kernelILj256ELj16ELj32ELN6hipcub17WarpLoadAlgorithmE0EiEvPT3_S3_
    .private_segment_fixed_size: 0
    .sgpr_count:     7
    .sgpr_spill_count: 0
    .symbol:         _Z16warp_load_kernelILj256ELj16ELj32ELN6hipcub17WarpLoadAlgorithmE0EiEvPT3_S3_.kd
    .uniform_work_group_size: 1
    .uses_dynamic_stack: false
    .vgpr_count:     25
    .vgpr_spill_count: 0
    .wavefront_size: 32
    .workgroup_processor_mode: 1
  - .args:
      - .address_space:  global
        .offset:         0
        .size:           8
        .value_kind:     global_buffer
      - .address_space:  global
        .offset:         8
        .size:           8
        .value_kind:     global_buffer
    .group_segment_fixed_size: 0
    .kernarg_segment_align: 8
    .kernarg_segment_size: 16
    .language:       OpenCL C
    .language_version:
      - 2
      - 0
    .max_flat_workgroup_size: 256
    .name:           _Z16warp_load_kernelILj256ELj16ELj32ELN6hipcub17WarpLoadAlgorithmE1EiEvPT3_S3_
    .private_segment_fixed_size: 0
    .sgpr_count:     7
    .sgpr_spill_count: 0
    .symbol:         _Z16warp_load_kernelILj256ELj16ELj32ELN6hipcub17WarpLoadAlgorithmE1EiEvPT3_S3_.kd
    .uniform_work_group_size: 1
    .uses_dynamic_stack: false
    .vgpr_count:     25
    .vgpr_spill_count: 0
    .wavefront_size: 32
    .workgroup_processor_mode: 1
  - .args:
      - .address_space:  global
        .offset:         0
        .size:           8
        .value_kind:     global_buffer
      - .address_space:  global
        .offset:         8
        .size:           8
        .value_kind:     global_buffer
    .group_segment_fixed_size: 0
    .kernarg_segment_align: 8
    .kernarg_segment_size: 16
    .language:       OpenCL C
    .language_version:
      - 2
      - 0
    .max_flat_workgroup_size: 256
    .name:           _Z16warp_load_kernelILj256ELj16ELj32ELN6hipcub17WarpLoadAlgorithmE2EiEvPT3_S3_
    .private_segment_fixed_size: 0
    .sgpr_count:     7
    .sgpr_spill_count: 0
    .symbol:         _Z16warp_load_kernelILj256ELj16ELj32ELN6hipcub17WarpLoadAlgorithmE2EiEvPT3_S3_.kd
    .uniform_work_group_size: 1
    .uses_dynamic_stack: false
    .vgpr_count:     25
    .vgpr_spill_count: 0
    .wavefront_size: 32
    .workgroup_processor_mode: 1
  - .args:
      - .address_space:  global
        .offset:         0
        .size:           8
        .value_kind:     global_buffer
      - .address_space:  global
        .offset:         8
        .size:           8
        .value_kind:     global_buffer
    .group_segment_fixed_size: 16384
    .kernarg_segment_align: 8
    .kernarg_segment_size: 16
    .language:       OpenCL C
    .language_version:
      - 2
      - 0
    .max_flat_workgroup_size: 256
    .name:           _Z16warp_load_kernelILj256ELj16ELj32ELN6hipcub17WarpLoadAlgorithmE3EiEvPT3_S3_
    .private_segment_fixed_size: 0
    .sgpr_count:     7
    .sgpr_spill_count: 0
    .symbol:         _Z16warp_load_kernelILj256ELj16ELj32ELN6hipcub17WarpLoadAlgorithmE3EiEvPT3_S3_.kd
    .uniform_work_group_size: 1
    .uses_dynamic_stack: false
    .vgpr_count:     33
    .vgpr_spill_count: 0
    .wavefront_size: 32
    .workgroup_processor_mode: 1
  - .args:
      - .address_space:  global
        .offset:         0
        .size:           8
        .value_kind:     global_buffer
      - .address_space:  global
        .offset:         8
        .size:           8
        .value_kind:     global_buffer
    .group_segment_fixed_size: 0
    .kernarg_segment_align: 8
    .kernarg_segment_size: 16
    .language:       OpenCL C
    .language_version:
      - 2
      - 0
    .max_flat_workgroup_size: 256
    .name:           _Z16warp_load_kernelILj256ELj32ELj32ELN6hipcub17WarpLoadAlgorithmE0EiEvPT3_S3_
    .private_segment_fixed_size: 0
    .sgpr_count:     7
    .sgpr_spill_count: 0
    .symbol:         _Z16warp_load_kernelILj256ELj32ELj32ELN6hipcub17WarpLoadAlgorithmE0EiEvPT3_S3_.kd
    .uniform_work_group_size: 1
    .uses_dynamic_stack: false
    .vgpr_count:     41
    .vgpr_spill_count: 0
    .wavefront_size: 32
    .workgroup_processor_mode: 1
  - .args:
      - .address_space:  global
        .offset:         0
        .size:           8
        .value_kind:     global_buffer
      - .address_space:  global
        .offset:         8
        .size:           8
        .value_kind:     global_buffer
    .group_segment_fixed_size: 0
    .kernarg_segment_align: 8
    .kernarg_segment_size: 16
    .language:       OpenCL C
    .language_version:
      - 2
      - 0
    .max_flat_workgroup_size: 256
    .name:           _Z16warp_load_kernelILj256ELj32ELj32ELN6hipcub17WarpLoadAlgorithmE1EiEvPT3_S3_
    .private_segment_fixed_size: 0
    .sgpr_count:     7
    .sgpr_spill_count: 0
    .symbol:         _Z16warp_load_kernelILj256ELj32ELj32ELN6hipcub17WarpLoadAlgorithmE1EiEvPT3_S3_.kd
    .uniform_work_group_size: 1
    .uses_dynamic_stack: false
    .vgpr_count:     41
    .vgpr_spill_count: 0
    .wavefront_size: 32
    .workgroup_processor_mode: 1
  - .args:
      - .address_space:  global
        .offset:         0
        .size:           8
        .value_kind:     global_buffer
      - .address_space:  global
        .offset:         8
        .size:           8
        .value_kind:     global_buffer
    .group_segment_fixed_size: 0
    .kernarg_segment_align: 8
    .kernarg_segment_size: 16
    .language:       OpenCL C
    .language_version:
      - 2
      - 0
    .max_flat_workgroup_size: 256
    .name:           _Z16warp_load_kernelILj256ELj32ELj32ELN6hipcub17WarpLoadAlgorithmE2EiEvPT3_S3_
    .private_segment_fixed_size: 0
    .sgpr_count:     7
    .sgpr_spill_count: 0
    .symbol:         _Z16warp_load_kernelILj256ELj32ELj32ELN6hipcub17WarpLoadAlgorithmE2EiEvPT3_S3_.kd
    .uniform_work_group_size: 1
    .uses_dynamic_stack: false
    .vgpr_count:     41
    .vgpr_spill_count: 0
    .wavefront_size: 32
    .workgroup_processor_mode: 1
  - .args:
      - .address_space:  global
        .offset:         0
        .size:           8
        .value_kind:     global_buffer
      - .address_space:  global
        .offset:         8
        .size:           8
        .value_kind:     global_buffer
    .group_segment_fixed_size: 32768
    .kernarg_segment_align: 8
    .kernarg_segment_size: 16
    .language:       OpenCL C
    .language_version:
      - 2
      - 0
    .max_flat_workgroup_size: 256
    .name:           _Z16warp_load_kernelILj256ELj32ELj32ELN6hipcub17WarpLoadAlgorithmE3EiEvPT3_S3_
    .private_segment_fixed_size: 0
    .sgpr_count:     7
    .sgpr_spill_count: 0
    .symbol:         _Z16warp_load_kernelILj256ELj32ELj32ELN6hipcub17WarpLoadAlgorithmE3EiEvPT3_S3_.kd
    .uniform_work_group_size: 1
    .uses_dynamic_stack: false
    .vgpr_count:     53
    .vgpr_spill_count: 0
    .wavefront_size: 32
    .workgroup_processor_mode: 1
  - .args:
      - .address_space:  global
        .offset:         0
        .size:           8
        .value_kind:     global_buffer
      - .address_space:  global
        .offset:         8
        .size:           8
        .value_kind:     global_buffer
    .group_segment_fixed_size: 0
    .kernarg_segment_align: 8
    .kernarg_segment_size: 16
    .language:       OpenCL C
    .language_version:
      - 2
      - 0
    .max_flat_workgroup_size: 256
    .name:           _Z16warp_load_kernelILj256ELj64ELj32ELN6hipcub17WarpLoadAlgorithmE0EiEvPT3_S3_
    .private_segment_fixed_size: 0
    .sgpr_count:     7
    .sgpr_spill_count: 0
    .symbol:         _Z16warp_load_kernelILj256ELj64ELj32ELN6hipcub17WarpLoadAlgorithmE0EiEvPT3_S3_.kd
    .uniform_work_group_size: 1
    .uses_dynamic_stack: false
    .vgpr_count:     73
    .vgpr_spill_count: 0
    .wavefront_size: 32
    .workgroup_processor_mode: 1
  - .args:
      - .address_space:  global
        .offset:         0
        .size:           8
        .value_kind:     global_buffer
      - .address_space:  global
        .offset:         8
        .size:           8
        .value_kind:     global_buffer
    .group_segment_fixed_size: 0
    .kernarg_segment_align: 8
    .kernarg_segment_size: 16
    .language:       OpenCL C
    .language_version:
      - 2
      - 0
    .max_flat_workgroup_size: 256
    .name:           _Z16warp_load_kernelILj256ELj64ELj32ELN6hipcub17WarpLoadAlgorithmE1EiEvPT3_S3_
    .private_segment_fixed_size: 0
    .sgpr_count:     7
    .sgpr_spill_count: 0
    .symbol:         _Z16warp_load_kernelILj256ELj64ELj32ELN6hipcub17WarpLoadAlgorithmE1EiEvPT3_S3_.kd
    .uniform_work_group_size: 1
    .uses_dynamic_stack: false
    .vgpr_count:     73
    .vgpr_spill_count: 0
    .wavefront_size: 32
    .workgroup_processor_mode: 1
  - .args:
      - .address_space:  global
        .offset:         0
        .size:           8
        .value_kind:     global_buffer
      - .address_space:  global
        .offset:         8
        .size:           8
        .value_kind:     global_buffer
    .group_segment_fixed_size: 0
    .kernarg_segment_align: 8
    .kernarg_segment_size: 16
    .language:       OpenCL C
    .language_version:
      - 2
      - 0
    .max_flat_workgroup_size: 256
    .name:           _Z16warp_load_kernelILj256ELj64ELj32ELN6hipcub17WarpLoadAlgorithmE2EiEvPT3_S3_
    .private_segment_fixed_size: 0
    .sgpr_count:     7
    .sgpr_spill_count: 0
    .symbol:         _Z16warp_load_kernelILj256ELj64ELj32ELN6hipcub17WarpLoadAlgorithmE2EiEvPT3_S3_.kd
    .uniform_work_group_size: 1
    .uses_dynamic_stack: false
    .vgpr_count:     73
    .vgpr_spill_count: 0
    .wavefront_size: 32
    .workgroup_processor_mode: 1
  - .args:
      - .address_space:  global
        .offset:         0
        .size:           8
        .value_kind:     global_buffer
      - .address_space:  global
        .offset:         8
        .size:           8
        .value_kind:     global_buffer
    .group_segment_fixed_size: 0
    .kernarg_segment_align: 8
    .kernarg_segment_size: 16
    .language:       OpenCL C
    .language_version:
      - 2
      - 0
    .max_flat_workgroup_size: 256
    .name:           _Z16warp_load_kernelILj256ELj4ELj32ELN6hipcub17WarpLoadAlgorithmE0EdEvPT3_S3_
    .private_segment_fixed_size: 0
    .sgpr_count:     7
    .sgpr_spill_count: 0
    .symbol:         _Z16warp_load_kernelILj256ELj4ELj32ELN6hipcub17WarpLoadAlgorithmE0EdEvPT3_S3_.kd
    .uniform_work_group_size: 1
    .uses_dynamic_stack: false
    .vgpr_count:     17
    .vgpr_spill_count: 0
    .wavefront_size: 32
    .workgroup_processor_mode: 1
  - .args:
      - .address_space:  global
        .offset:         0
        .size:           8
        .value_kind:     global_buffer
      - .address_space:  global
        .offset:         8
        .size:           8
        .value_kind:     global_buffer
    .group_segment_fixed_size: 0
    .kernarg_segment_align: 8
    .kernarg_segment_size: 16
    .language:       OpenCL C
    .language_version:
      - 2
      - 0
    .max_flat_workgroup_size: 256
    .name:           _Z16warp_load_kernelILj256ELj4ELj32ELN6hipcub17WarpLoadAlgorithmE1EdEvPT3_S3_
    .private_segment_fixed_size: 0
    .sgpr_count:     7
    .sgpr_spill_count: 0
    .symbol:         _Z16warp_load_kernelILj256ELj4ELj32ELN6hipcub17WarpLoadAlgorithmE1EdEvPT3_S3_.kd
    .uniform_work_group_size: 1
    .uses_dynamic_stack: false
    .vgpr_count:     17
    .vgpr_spill_count: 0
    .wavefront_size: 32
    .workgroup_processor_mode: 1
  - .args:
      - .address_space:  global
        .offset:         0
        .size:           8
        .value_kind:     global_buffer
      - .address_space:  global
        .offset:         8
        .size:           8
        .value_kind:     global_buffer
    .group_segment_fixed_size: 0
    .kernarg_segment_align: 8
    .kernarg_segment_size: 16
    .language:       OpenCL C
    .language_version:
      - 2
      - 0
    .max_flat_workgroup_size: 256
    .name:           _Z16warp_load_kernelILj256ELj4ELj32ELN6hipcub17WarpLoadAlgorithmE2EdEvPT3_S3_
    .private_segment_fixed_size: 0
    .sgpr_count:     7
    .sgpr_spill_count: 0
    .symbol:         _Z16warp_load_kernelILj256ELj4ELj32ELN6hipcub17WarpLoadAlgorithmE2EdEvPT3_S3_.kd
    .uniform_work_group_size: 1
    .uses_dynamic_stack: false
    .vgpr_count:     17
    .vgpr_spill_count: 0
    .wavefront_size: 32
    .workgroup_processor_mode: 1
  - .args:
      - .address_space:  global
        .offset:         0
        .size:           8
        .value_kind:     global_buffer
      - .address_space:  global
        .offset:         8
        .size:           8
        .value_kind:     global_buffer
    .group_segment_fixed_size: 8192
    .kernarg_segment_align: 8
    .kernarg_segment_size: 16
    .language:       OpenCL C
    .language_version:
      - 2
      - 0
    .max_flat_workgroup_size: 256
    .name:           _Z16warp_load_kernelILj256ELj4ELj32ELN6hipcub17WarpLoadAlgorithmE3EdEvPT3_S3_
    .private_segment_fixed_size: 0
    .sgpr_count:     7
    .sgpr_spill_count: 0
    .symbol:         _Z16warp_load_kernelILj256ELj4ELj32ELN6hipcub17WarpLoadAlgorithmE3EdEvPT3_S3_.kd
    .uniform_work_group_size: 1
    .uses_dynamic_stack: false
    .vgpr_count:     19
    .vgpr_spill_count: 0
    .wavefront_size: 32
    .workgroup_processor_mode: 1
  - .args:
      - .address_space:  global
        .offset:         0
        .size:           8
        .value_kind:     global_buffer
      - .address_space:  global
        .offset:         8
        .size:           8
        .value_kind:     global_buffer
    .group_segment_fixed_size: 0
    .kernarg_segment_align: 8
    .kernarg_segment_size: 16
    .language:       OpenCL C
    .language_version:
      - 2
      - 0
    .max_flat_workgroup_size: 256
    .name:           _Z16warp_load_kernelILj256ELj8ELj32ELN6hipcub17WarpLoadAlgorithmE0EdEvPT3_S3_
    .private_segment_fixed_size: 0
    .sgpr_count:     7
    .sgpr_spill_count: 0
    .symbol:         _Z16warp_load_kernelILj256ELj8ELj32ELN6hipcub17WarpLoadAlgorithmE0EdEvPT3_S3_.kd
    .uniform_work_group_size: 1
    .uses_dynamic_stack: false
    .vgpr_count:     25
    .vgpr_spill_count: 0
    .wavefront_size: 32
    .workgroup_processor_mode: 1
  - .args:
      - .address_space:  global
        .offset:         0
        .size:           8
        .value_kind:     global_buffer
      - .address_space:  global
        .offset:         8
        .size:           8
        .value_kind:     global_buffer
    .group_segment_fixed_size: 0
    .kernarg_segment_align: 8
    .kernarg_segment_size: 16
    .language:       OpenCL C
    .language_version:
      - 2
      - 0
    .max_flat_workgroup_size: 256
    .name:           _Z16warp_load_kernelILj256ELj8ELj32ELN6hipcub17WarpLoadAlgorithmE1EdEvPT3_S3_
    .private_segment_fixed_size: 0
    .sgpr_count:     7
    .sgpr_spill_count: 0
    .symbol:         _Z16warp_load_kernelILj256ELj8ELj32ELN6hipcub17WarpLoadAlgorithmE1EdEvPT3_S3_.kd
    .uniform_work_group_size: 1
    .uses_dynamic_stack: false
    .vgpr_count:     25
    .vgpr_spill_count: 0
    .wavefront_size: 32
    .workgroup_processor_mode: 1
  - .args:
      - .address_space:  global
        .offset:         0
        .size:           8
        .value_kind:     global_buffer
      - .address_space:  global
        .offset:         8
        .size:           8
        .value_kind:     global_buffer
    .group_segment_fixed_size: 0
    .kernarg_segment_align: 8
    .kernarg_segment_size: 16
    .language:       OpenCL C
    .language_version:
      - 2
      - 0
    .max_flat_workgroup_size: 256
    .name:           _Z16warp_load_kernelILj256ELj8ELj32ELN6hipcub17WarpLoadAlgorithmE2EdEvPT3_S3_
    .private_segment_fixed_size: 0
    .sgpr_count:     7
    .sgpr_spill_count: 0
    .symbol:         _Z16warp_load_kernelILj256ELj8ELj32ELN6hipcub17WarpLoadAlgorithmE2EdEvPT3_S3_.kd
    .uniform_work_group_size: 1
    .uses_dynamic_stack: false
    .vgpr_count:     25
    .vgpr_spill_count: 0
    .wavefront_size: 32
    .workgroup_processor_mode: 1
  - .args:
      - .address_space:  global
        .offset:         0
        .size:           8
        .value_kind:     global_buffer
      - .address_space:  global
        .offset:         8
        .size:           8
        .value_kind:     global_buffer
    .group_segment_fixed_size: 16384
    .kernarg_segment_align: 8
    .kernarg_segment_size: 16
    .language:       OpenCL C
    .language_version:
      - 2
      - 0
    .max_flat_workgroup_size: 256
    .name:           _Z16warp_load_kernelILj256ELj8ELj32ELN6hipcub17WarpLoadAlgorithmE3EdEvPT3_S3_
    .private_segment_fixed_size: 0
    .sgpr_count:     7
    .sgpr_spill_count: 0
    .symbol:         _Z16warp_load_kernelILj256ELj8ELj32ELN6hipcub17WarpLoadAlgorithmE3EdEvPT3_S3_.kd
    .uniform_work_group_size: 1
    .uses_dynamic_stack: false
    .vgpr_count:     29
    .vgpr_spill_count: 0
    .wavefront_size: 32
    .workgroup_processor_mode: 1
  - .args:
      - .address_space:  global
        .offset:         0
        .size:           8
        .value_kind:     global_buffer
      - .address_space:  global
        .offset:         8
        .size:           8
        .value_kind:     global_buffer
    .group_segment_fixed_size: 0
    .kernarg_segment_align: 8
    .kernarg_segment_size: 16
    .language:       OpenCL C
    .language_version:
      - 2
      - 0
    .max_flat_workgroup_size: 256
    .name:           _Z16warp_load_kernelILj256ELj16ELj32ELN6hipcub17WarpLoadAlgorithmE0EdEvPT3_S3_
    .private_segment_fixed_size: 0
    .sgpr_count:     7
    .sgpr_spill_count: 0
    .symbol:         _Z16warp_load_kernelILj256ELj16ELj32ELN6hipcub17WarpLoadAlgorithmE0EdEvPT3_S3_.kd
    .uniform_work_group_size: 1
    .uses_dynamic_stack: false
    .vgpr_count:     41
    .vgpr_spill_count: 0
    .wavefront_size: 32
    .workgroup_processor_mode: 1
  - .args:
      - .address_space:  global
        .offset:         0
        .size:           8
        .value_kind:     global_buffer
      - .address_space:  global
        .offset:         8
        .size:           8
        .value_kind:     global_buffer
    .group_segment_fixed_size: 0
    .kernarg_segment_align: 8
    .kernarg_segment_size: 16
    .language:       OpenCL C
    .language_version:
      - 2
      - 0
    .max_flat_workgroup_size: 256
    .name:           _Z16warp_load_kernelILj256ELj16ELj32ELN6hipcub17WarpLoadAlgorithmE1EdEvPT3_S3_
    .private_segment_fixed_size: 0
    .sgpr_count:     7
    .sgpr_spill_count: 0
    .symbol:         _Z16warp_load_kernelILj256ELj16ELj32ELN6hipcub17WarpLoadAlgorithmE1EdEvPT3_S3_.kd
    .uniform_work_group_size: 1
    .uses_dynamic_stack: false
    .vgpr_count:     41
    .vgpr_spill_count: 0
    .wavefront_size: 32
    .workgroup_processor_mode: 1
  - .args:
      - .address_space:  global
        .offset:         0
        .size:           8
        .value_kind:     global_buffer
      - .address_space:  global
        .offset:         8
        .size:           8
        .value_kind:     global_buffer
    .group_segment_fixed_size: 0
    .kernarg_segment_align: 8
    .kernarg_segment_size: 16
    .language:       OpenCL C
    .language_version:
      - 2
      - 0
    .max_flat_workgroup_size: 256
    .name:           _Z16warp_load_kernelILj256ELj16ELj32ELN6hipcub17WarpLoadAlgorithmE2EdEvPT3_S3_
    .private_segment_fixed_size: 0
    .sgpr_count:     7
    .sgpr_spill_count: 0
    .symbol:         _Z16warp_load_kernelILj256ELj16ELj32ELN6hipcub17WarpLoadAlgorithmE2EdEvPT3_S3_.kd
    .uniform_work_group_size: 1
    .uses_dynamic_stack: false
    .vgpr_count:     41
    .vgpr_spill_count: 0
    .wavefront_size: 32
    .workgroup_processor_mode: 1
  - .args:
      - .address_space:  global
        .offset:         0
        .size:           8
        .value_kind:     global_buffer
      - .address_space:  global
        .offset:         8
        .size:           8
        .value_kind:     global_buffer
    .group_segment_fixed_size: 32768
    .kernarg_segment_align: 8
    .kernarg_segment_size: 16
    .language:       OpenCL C
    .language_version:
      - 2
      - 0
    .max_flat_workgroup_size: 256
    .name:           _Z16warp_load_kernelILj256ELj16ELj32ELN6hipcub17WarpLoadAlgorithmE3EdEvPT3_S3_
    .private_segment_fixed_size: 0
    .sgpr_count:     7
    .sgpr_spill_count: 0
    .symbol:         _Z16warp_load_kernelILj256ELj16ELj32ELN6hipcub17WarpLoadAlgorithmE3EdEvPT3_S3_.kd
    .uniform_work_group_size: 1
    .uses_dynamic_stack: false
    .vgpr_count:     45
    .vgpr_spill_count: 0
    .wavefront_size: 32
    .workgroup_processor_mode: 1
  - .args:
      - .address_space:  global
        .offset:         0
        .size:           8
        .value_kind:     global_buffer
      - .address_space:  global
        .offset:         8
        .size:           8
        .value_kind:     global_buffer
    .group_segment_fixed_size: 0
    .kernarg_segment_align: 8
    .kernarg_segment_size: 16
    .language:       OpenCL C
    .language_version:
      - 2
      - 0
    .max_flat_workgroup_size: 256
    .name:           _Z16warp_load_kernelILj256ELj32ELj32ELN6hipcub17WarpLoadAlgorithmE0EdEvPT3_S3_
    .private_segment_fixed_size: 0
    .sgpr_count:     7
    .sgpr_spill_count: 0
    .symbol:         _Z16warp_load_kernelILj256ELj32ELj32ELN6hipcub17WarpLoadAlgorithmE0EdEvPT3_S3_.kd
    .uniform_work_group_size: 1
    .uses_dynamic_stack: false
    .vgpr_count:     73
    .vgpr_spill_count: 0
    .wavefront_size: 32
    .workgroup_processor_mode: 1
  - .args:
      - .address_space:  global
        .offset:         0
        .size:           8
        .value_kind:     global_buffer
      - .address_space:  global
        .offset:         8
        .size:           8
        .value_kind:     global_buffer
    .group_segment_fixed_size: 0
    .kernarg_segment_align: 8
    .kernarg_segment_size: 16
    .language:       OpenCL C
    .language_version:
      - 2
      - 0
    .max_flat_workgroup_size: 256
    .name:           _Z16warp_load_kernelILj256ELj32ELj32ELN6hipcub17WarpLoadAlgorithmE1EdEvPT3_S3_
    .private_segment_fixed_size: 0
    .sgpr_count:     7
    .sgpr_spill_count: 0
    .symbol:         _Z16warp_load_kernelILj256ELj32ELj32ELN6hipcub17WarpLoadAlgorithmE1EdEvPT3_S3_.kd
    .uniform_work_group_size: 1
    .uses_dynamic_stack: false
    .vgpr_count:     73
    .vgpr_spill_count: 0
    .wavefront_size: 32
    .workgroup_processor_mode: 1
  - .args:
      - .address_space:  global
        .offset:         0
        .size:           8
        .value_kind:     global_buffer
      - .address_space:  global
        .offset:         8
        .size:           8
        .value_kind:     global_buffer
    .group_segment_fixed_size: 0
    .kernarg_segment_align: 8
    .kernarg_segment_size: 16
    .language:       OpenCL C
    .language_version:
      - 2
      - 0
    .max_flat_workgroup_size: 256
    .name:           _Z16warp_load_kernelILj256ELj32ELj32ELN6hipcub17WarpLoadAlgorithmE2EdEvPT3_S3_
    .private_segment_fixed_size: 0
    .sgpr_count:     7
    .sgpr_spill_count: 0
    .symbol:         _Z16warp_load_kernelILj256ELj32ELj32ELN6hipcub17WarpLoadAlgorithmE2EdEvPT3_S3_.kd
    .uniform_work_group_size: 1
    .uses_dynamic_stack: false
    .vgpr_count:     73
    .vgpr_spill_count: 0
    .wavefront_size: 32
    .workgroup_processor_mode: 1
  - .args:
      - .address_space:  global
        .offset:         0
        .size:           8
        .value_kind:     global_buffer
      - .address_space:  global
        .offset:         8
        .size:           8
        .value_kind:     global_buffer
    .group_segment_fixed_size: 0
    .kernarg_segment_align: 8
    .kernarg_segment_size: 16
    .language:       OpenCL C
    .language_version:
      - 2
      - 0
    .max_flat_workgroup_size: 256
    .name:           _Z16warp_load_kernelILj256ELj64ELj32ELN6hipcub17WarpLoadAlgorithmE0EdEvPT3_S3_
    .private_segment_fixed_size: 0
    .sgpr_count:     7
    .sgpr_spill_count: 0
    .symbol:         _Z16warp_load_kernelILj256ELj64ELj32ELN6hipcub17WarpLoadAlgorithmE0EdEvPT3_S3_.kd
    .uniform_work_group_size: 1
    .uses_dynamic_stack: false
    .vgpr_count:     137
    .vgpr_spill_count: 0
    .wavefront_size: 32
    .workgroup_processor_mode: 1
  - .args:
      - .address_space:  global
        .offset:         0
        .size:           8
        .value_kind:     global_buffer
      - .address_space:  global
        .offset:         8
        .size:           8
        .value_kind:     global_buffer
    .group_segment_fixed_size: 0
    .kernarg_segment_align: 8
    .kernarg_segment_size: 16
    .language:       OpenCL C
    .language_version:
      - 2
      - 0
    .max_flat_workgroup_size: 256
    .name:           _Z16warp_load_kernelILj256ELj64ELj32ELN6hipcub17WarpLoadAlgorithmE1EdEvPT3_S3_
    .private_segment_fixed_size: 0
    .sgpr_count:     7
    .sgpr_spill_count: 0
    .symbol:         _Z16warp_load_kernelILj256ELj64ELj32ELN6hipcub17WarpLoadAlgorithmE1EdEvPT3_S3_.kd
    .uniform_work_group_size: 1
    .uses_dynamic_stack: false
    .vgpr_count:     137
    .vgpr_spill_count: 0
    .wavefront_size: 32
    .workgroup_processor_mode: 1
  - .args:
      - .address_space:  global
        .offset:         0
        .size:           8
        .value_kind:     global_buffer
      - .address_space:  global
        .offset:         8
        .size:           8
        .value_kind:     global_buffer
    .group_segment_fixed_size: 0
    .kernarg_segment_align: 8
    .kernarg_segment_size: 16
    .language:       OpenCL C
    .language_version:
      - 2
      - 0
    .max_flat_workgroup_size: 256
    .name:           _Z16warp_load_kernelILj256ELj64ELj32ELN6hipcub17WarpLoadAlgorithmE2EdEvPT3_S3_
    .private_segment_fixed_size: 0
    .sgpr_count:     7
    .sgpr_spill_count: 0
    .symbol:         _Z16warp_load_kernelILj256ELj64ELj32ELN6hipcub17WarpLoadAlgorithmE2EdEvPT3_S3_.kd
    .uniform_work_group_size: 1
    .uses_dynamic_stack: false
    .vgpr_count:     137
    .vgpr_spill_count: 0
    .wavefront_size: 32
    .workgroup_processor_mode: 1
  - .args:
      - .address_space:  global
        .offset:         0
        .size:           8
        .value_kind:     global_buffer
      - .address_space:  global
        .offset:         8
        .size:           8
        .value_kind:     global_buffer
    .group_segment_fixed_size: 0
    .kernarg_segment_align: 8
    .kernarg_segment_size: 16
    .language:       OpenCL C
    .language_version:
      - 2
      - 0
    .max_flat_workgroup_size: 256
    .name:           _Z16warp_load_kernelILj256ELj4ELj64ELN6hipcub17WarpLoadAlgorithmE0EiEvPT3_S3_
    .private_segment_fixed_size: 0
    .sgpr_count:     7
    .sgpr_spill_count: 0
    .symbol:         _Z16warp_load_kernelILj256ELj4ELj64ELN6hipcub17WarpLoadAlgorithmE0EiEvPT3_S3_.kd
    .uniform_work_group_size: 1
    .uses_dynamic_stack: false
    .vgpr_count:     13
    .vgpr_spill_count: 0
    .wavefront_size: 32
    .workgroup_processor_mode: 1
  - .args:
      - .address_space:  global
        .offset:         0
        .size:           8
        .value_kind:     global_buffer
      - .address_space:  global
        .offset:         8
        .size:           8
        .value_kind:     global_buffer
    .group_segment_fixed_size: 0
    .kernarg_segment_align: 8
    .kernarg_segment_size: 16
    .language:       OpenCL C
    .language_version:
      - 2
      - 0
    .max_flat_workgroup_size: 256
    .name:           _Z16warp_load_kernelILj256ELj4ELj64ELN6hipcub17WarpLoadAlgorithmE1EiEvPT3_S3_
    .private_segment_fixed_size: 0
    .sgpr_count:     7
    .sgpr_spill_count: 0
    .symbol:         _Z16warp_load_kernelILj256ELj4ELj64ELN6hipcub17WarpLoadAlgorithmE1EiEvPT3_S3_.kd
    .uniform_work_group_size: 1
    .uses_dynamic_stack: false
    .vgpr_count:     13
    .vgpr_spill_count: 0
    .wavefront_size: 32
    .workgroup_processor_mode: 1
  - .args:
      - .address_space:  global
        .offset:         0
        .size:           8
        .value_kind:     global_buffer
      - .address_space:  global
        .offset:         8
        .size:           8
        .value_kind:     global_buffer
    .group_segment_fixed_size: 0
    .kernarg_segment_align: 8
    .kernarg_segment_size: 16
    .language:       OpenCL C
    .language_version:
      - 2
      - 0
    .max_flat_workgroup_size: 256
    .name:           _Z16warp_load_kernelILj256ELj4ELj64ELN6hipcub17WarpLoadAlgorithmE2EiEvPT3_S3_
    .private_segment_fixed_size: 0
    .sgpr_count:     7
    .sgpr_spill_count: 0
    .symbol:         _Z16warp_load_kernelILj256ELj4ELj64ELN6hipcub17WarpLoadAlgorithmE2EiEvPT3_S3_.kd
    .uniform_work_group_size: 1
    .uses_dynamic_stack: false
    .vgpr_count:     13
    .vgpr_spill_count: 0
    .wavefront_size: 32
    .workgroup_processor_mode: 1
  - .args:
      - .address_space:  global
        .offset:         0
        .size:           8
        .value_kind:     global_buffer
      - .address_space:  global
        .offset:         8
        .size:           8
        .value_kind:     global_buffer
    .group_segment_fixed_size: 4096
    .kernarg_segment_align: 8
    .kernarg_segment_size: 16
    .language:       OpenCL C
    .language_version:
      - 2
      - 0
    .max_flat_workgroup_size: 256
    .name:           _Z16warp_load_kernelILj256ELj4ELj64ELN6hipcub17WarpLoadAlgorithmE3EiEvPT3_S3_
    .private_segment_fixed_size: 0
    .sgpr_count:     7
    .sgpr_spill_count: 0
    .symbol:         _Z16warp_load_kernelILj256ELj4ELj64ELN6hipcub17WarpLoadAlgorithmE3EiEvPT3_S3_.kd
    .uniform_work_group_size: 1
    .uses_dynamic_stack: false
    .vgpr_count:     16
    .vgpr_spill_count: 0
    .wavefront_size: 32
    .workgroup_processor_mode: 1
  - .args:
      - .address_space:  global
        .offset:         0
        .size:           8
        .value_kind:     global_buffer
      - .address_space:  global
        .offset:         8
        .size:           8
        .value_kind:     global_buffer
    .group_segment_fixed_size: 0
    .kernarg_segment_align: 8
    .kernarg_segment_size: 16
    .language:       OpenCL C
    .language_version:
      - 2
      - 0
    .max_flat_workgroup_size: 256
    .name:           _Z16warp_load_kernelILj256ELj8ELj64ELN6hipcub17WarpLoadAlgorithmE0EiEvPT3_S3_
    .private_segment_fixed_size: 0
    .sgpr_count:     7
    .sgpr_spill_count: 0
    .symbol:         _Z16warp_load_kernelILj256ELj8ELj64ELN6hipcub17WarpLoadAlgorithmE0EiEvPT3_S3_.kd
    .uniform_work_group_size: 1
    .uses_dynamic_stack: false
    .vgpr_count:     17
    .vgpr_spill_count: 0
    .wavefront_size: 32
    .workgroup_processor_mode: 1
  - .args:
      - .address_space:  global
        .offset:         0
        .size:           8
        .value_kind:     global_buffer
      - .address_space:  global
        .offset:         8
        .size:           8
        .value_kind:     global_buffer
    .group_segment_fixed_size: 0
    .kernarg_segment_align: 8
    .kernarg_segment_size: 16
    .language:       OpenCL C
    .language_version:
      - 2
      - 0
    .max_flat_workgroup_size: 256
    .name:           _Z16warp_load_kernelILj256ELj8ELj64ELN6hipcub17WarpLoadAlgorithmE1EiEvPT3_S3_
    .private_segment_fixed_size: 0
    .sgpr_count:     7
    .sgpr_spill_count: 0
    .symbol:         _Z16warp_load_kernelILj256ELj8ELj64ELN6hipcub17WarpLoadAlgorithmE1EiEvPT3_S3_.kd
    .uniform_work_group_size: 1
    .uses_dynamic_stack: false
    .vgpr_count:     17
    .vgpr_spill_count: 0
    .wavefront_size: 32
    .workgroup_processor_mode: 1
  - .args:
      - .address_space:  global
        .offset:         0
        .size:           8
        .value_kind:     global_buffer
      - .address_space:  global
        .offset:         8
        .size:           8
        .value_kind:     global_buffer
    .group_segment_fixed_size: 0
    .kernarg_segment_align: 8
    .kernarg_segment_size: 16
    .language:       OpenCL C
    .language_version:
      - 2
      - 0
    .max_flat_workgroup_size: 256
    .name:           _Z16warp_load_kernelILj256ELj8ELj64ELN6hipcub17WarpLoadAlgorithmE2EiEvPT3_S3_
    .private_segment_fixed_size: 0
    .sgpr_count:     7
    .sgpr_spill_count: 0
    .symbol:         _Z16warp_load_kernelILj256ELj8ELj64ELN6hipcub17WarpLoadAlgorithmE2EiEvPT3_S3_.kd
    .uniform_work_group_size: 1
    .uses_dynamic_stack: false
    .vgpr_count:     17
    .vgpr_spill_count: 0
    .wavefront_size: 32
    .workgroup_processor_mode: 1
  - .args:
      - .address_space:  global
        .offset:         0
        .size:           8
        .value_kind:     global_buffer
      - .address_space:  global
        .offset:         8
        .size:           8
        .value_kind:     global_buffer
    .group_segment_fixed_size: 8192
    .kernarg_segment_align: 8
    .kernarg_segment_size: 16
    .language:       OpenCL C
    .language_version:
      - 2
      - 0
    .max_flat_workgroup_size: 256
    .name:           _Z16warp_load_kernelILj256ELj8ELj64ELN6hipcub17WarpLoadAlgorithmE3EiEvPT3_S3_
    .private_segment_fixed_size: 0
    .sgpr_count:     7
    .sgpr_spill_count: 0
    .symbol:         _Z16warp_load_kernelILj256ELj8ELj64ELN6hipcub17WarpLoadAlgorithmE3EiEvPT3_S3_.kd
    .uniform_work_group_size: 1
    .uses_dynamic_stack: false
    .vgpr_count:     21
    .vgpr_spill_count: 0
    .wavefront_size: 32
    .workgroup_processor_mode: 1
  - .args:
      - .address_space:  global
        .offset:         0
        .size:           8
        .value_kind:     global_buffer
      - .address_space:  global
        .offset:         8
        .size:           8
        .value_kind:     global_buffer
    .group_segment_fixed_size: 0
    .kernarg_segment_align: 8
    .kernarg_segment_size: 16
    .language:       OpenCL C
    .language_version:
      - 2
      - 0
    .max_flat_workgroup_size: 256
    .name:           _Z16warp_load_kernelILj256ELj16ELj64ELN6hipcub17WarpLoadAlgorithmE0EiEvPT3_S3_
    .private_segment_fixed_size: 0
    .sgpr_count:     7
    .sgpr_spill_count: 0
    .symbol:         _Z16warp_load_kernelILj256ELj16ELj64ELN6hipcub17WarpLoadAlgorithmE0EiEvPT3_S3_.kd
    .uniform_work_group_size: 1
    .uses_dynamic_stack: false
    .vgpr_count:     25
    .vgpr_spill_count: 0
    .wavefront_size: 32
    .workgroup_processor_mode: 1
  - .args:
      - .address_space:  global
        .offset:         0
        .size:           8
        .value_kind:     global_buffer
      - .address_space:  global
        .offset:         8
        .size:           8
        .value_kind:     global_buffer
    .group_segment_fixed_size: 0
    .kernarg_segment_align: 8
    .kernarg_segment_size: 16
    .language:       OpenCL C
    .language_version:
      - 2
      - 0
    .max_flat_workgroup_size: 256
    .name:           _Z16warp_load_kernelILj256ELj16ELj64ELN6hipcub17WarpLoadAlgorithmE1EiEvPT3_S3_
    .private_segment_fixed_size: 0
    .sgpr_count:     7
    .sgpr_spill_count: 0
    .symbol:         _Z16warp_load_kernelILj256ELj16ELj64ELN6hipcub17WarpLoadAlgorithmE1EiEvPT3_S3_.kd
    .uniform_work_group_size: 1
    .uses_dynamic_stack: false
    .vgpr_count:     25
    .vgpr_spill_count: 0
    .wavefront_size: 32
    .workgroup_processor_mode: 1
  - .args:
      - .address_space:  global
        .offset:         0
        .size:           8
        .value_kind:     global_buffer
      - .address_space:  global
        .offset:         8
        .size:           8
        .value_kind:     global_buffer
    .group_segment_fixed_size: 0
    .kernarg_segment_align: 8
    .kernarg_segment_size: 16
    .language:       OpenCL C
    .language_version:
      - 2
      - 0
    .max_flat_workgroup_size: 256
    .name:           _Z16warp_load_kernelILj256ELj16ELj64ELN6hipcub17WarpLoadAlgorithmE2EiEvPT3_S3_
    .private_segment_fixed_size: 0
    .sgpr_count:     7
    .sgpr_spill_count: 0
    .symbol:         _Z16warp_load_kernelILj256ELj16ELj64ELN6hipcub17WarpLoadAlgorithmE2EiEvPT3_S3_.kd
    .uniform_work_group_size: 1
    .uses_dynamic_stack: false
    .vgpr_count:     25
    .vgpr_spill_count: 0
    .wavefront_size: 32
    .workgroup_processor_mode: 1
  - .args:
      - .address_space:  global
        .offset:         0
        .size:           8
        .value_kind:     global_buffer
      - .address_space:  global
        .offset:         8
        .size:           8
        .value_kind:     global_buffer
    .group_segment_fixed_size: 16384
    .kernarg_segment_align: 8
    .kernarg_segment_size: 16
    .language:       OpenCL C
    .language_version:
      - 2
      - 0
    .max_flat_workgroup_size: 256
    .name:           _Z16warp_load_kernelILj256ELj16ELj64ELN6hipcub17WarpLoadAlgorithmE3EiEvPT3_S3_
    .private_segment_fixed_size: 0
    .sgpr_count:     7
    .sgpr_spill_count: 0
    .symbol:         _Z16warp_load_kernelILj256ELj16ELj64ELN6hipcub17WarpLoadAlgorithmE3EiEvPT3_S3_.kd
    .uniform_work_group_size: 1
    .uses_dynamic_stack: false
    .vgpr_count:     34
    .vgpr_spill_count: 0
    .wavefront_size: 32
    .workgroup_processor_mode: 1
  - .args:
      - .address_space:  global
        .offset:         0
        .size:           8
        .value_kind:     global_buffer
      - .address_space:  global
        .offset:         8
        .size:           8
        .value_kind:     global_buffer
    .group_segment_fixed_size: 0
    .kernarg_segment_align: 8
    .kernarg_segment_size: 16
    .language:       OpenCL C
    .language_version:
      - 2
      - 0
    .max_flat_workgroup_size: 256
    .name:           _Z16warp_load_kernelILj256ELj32ELj64ELN6hipcub17WarpLoadAlgorithmE0EiEvPT3_S3_
    .private_segment_fixed_size: 0
    .sgpr_count:     7
    .sgpr_spill_count: 0
    .symbol:         _Z16warp_load_kernelILj256ELj32ELj64ELN6hipcub17WarpLoadAlgorithmE0EiEvPT3_S3_.kd
    .uniform_work_group_size: 1
    .uses_dynamic_stack: false
    .vgpr_count:     41
    .vgpr_spill_count: 0
    .wavefront_size: 32
    .workgroup_processor_mode: 1
  - .args:
      - .address_space:  global
        .offset:         0
        .size:           8
        .value_kind:     global_buffer
      - .address_space:  global
        .offset:         8
        .size:           8
        .value_kind:     global_buffer
    .group_segment_fixed_size: 0
    .kernarg_segment_align: 8
    .kernarg_segment_size: 16
    .language:       OpenCL C
    .language_version:
      - 2
      - 0
    .max_flat_workgroup_size: 256
    .name:           _Z16warp_load_kernelILj256ELj32ELj64ELN6hipcub17WarpLoadAlgorithmE1EiEvPT3_S3_
    .private_segment_fixed_size: 0
    .sgpr_count:     7
    .sgpr_spill_count: 0
    .symbol:         _Z16warp_load_kernelILj256ELj32ELj64ELN6hipcub17WarpLoadAlgorithmE1EiEvPT3_S3_.kd
    .uniform_work_group_size: 1
    .uses_dynamic_stack: false
    .vgpr_count:     41
    .vgpr_spill_count: 0
    .wavefront_size: 32
    .workgroup_processor_mode: 1
  - .args:
      - .address_space:  global
        .offset:         0
        .size:           8
        .value_kind:     global_buffer
      - .address_space:  global
        .offset:         8
        .size:           8
        .value_kind:     global_buffer
    .group_segment_fixed_size: 0
    .kernarg_segment_align: 8
    .kernarg_segment_size: 16
    .language:       OpenCL C
    .language_version:
      - 2
      - 0
    .max_flat_workgroup_size: 256
    .name:           _Z16warp_load_kernelILj256ELj32ELj64ELN6hipcub17WarpLoadAlgorithmE2EiEvPT3_S3_
    .private_segment_fixed_size: 0
    .sgpr_count:     7
    .sgpr_spill_count: 0
    .symbol:         _Z16warp_load_kernelILj256ELj32ELj64ELN6hipcub17WarpLoadAlgorithmE2EiEvPT3_S3_.kd
    .uniform_work_group_size: 1
    .uses_dynamic_stack: false
    .vgpr_count:     41
    .vgpr_spill_count: 0
    .wavefront_size: 32
    .workgroup_processor_mode: 1
  - .args:
      - .address_space:  global
        .offset:         0
        .size:           8
        .value_kind:     global_buffer
      - .address_space:  global
        .offset:         8
        .size:           8
        .value_kind:     global_buffer
    .group_segment_fixed_size: 32768
    .kernarg_segment_align: 8
    .kernarg_segment_size: 16
    .language:       OpenCL C
    .language_version:
      - 2
      - 0
    .max_flat_workgroup_size: 256
    .name:           _Z16warp_load_kernelILj256ELj32ELj64ELN6hipcub17WarpLoadAlgorithmE3EiEvPT3_S3_
    .private_segment_fixed_size: 0
    .sgpr_count:     7
    .sgpr_spill_count: 0
    .symbol:         _Z16warp_load_kernelILj256ELj32ELj64ELN6hipcub17WarpLoadAlgorithmE3EiEvPT3_S3_.kd
    .uniform_work_group_size: 1
    .uses_dynamic_stack: false
    .vgpr_count:     51
    .vgpr_spill_count: 0
    .wavefront_size: 32
    .workgroup_processor_mode: 1
  - .args:
      - .address_space:  global
        .offset:         0
        .size:           8
        .value_kind:     global_buffer
      - .address_space:  global
        .offset:         8
        .size:           8
        .value_kind:     global_buffer
    .group_segment_fixed_size: 0
    .kernarg_segment_align: 8
    .kernarg_segment_size: 16
    .language:       OpenCL C
    .language_version:
      - 2
      - 0
    .max_flat_workgroup_size: 256
    .name:           _Z16warp_load_kernelILj256ELj64ELj64ELN6hipcub17WarpLoadAlgorithmE0EiEvPT3_S3_
    .private_segment_fixed_size: 0
    .sgpr_count:     7
    .sgpr_spill_count: 0
    .symbol:         _Z16warp_load_kernelILj256ELj64ELj64ELN6hipcub17WarpLoadAlgorithmE0EiEvPT3_S3_.kd
    .uniform_work_group_size: 1
    .uses_dynamic_stack: false
    .vgpr_count:     73
    .vgpr_spill_count: 0
    .wavefront_size: 32
    .workgroup_processor_mode: 1
  - .args:
      - .address_space:  global
        .offset:         0
        .size:           8
        .value_kind:     global_buffer
      - .address_space:  global
        .offset:         8
        .size:           8
        .value_kind:     global_buffer
    .group_segment_fixed_size: 0
    .kernarg_segment_align: 8
    .kernarg_segment_size: 16
    .language:       OpenCL C
    .language_version:
      - 2
      - 0
    .max_flat_workgroup_size: 256
    .name:           _Z16warp_load_kernelILj256ELj64ELj64ELN6hipcub17WarpLoadAlgorithmE1EiEvPT3_S3_
    .private_segment_fixed_size: 0
    .sgpr_count:     7
    .sgpr_spill_count: 0
    .symbol:         _Z16warp_load_kernelILj256ELj64ELj64ELN6hipcub17WarpLoadAlgorithmE1EiEvPT3_S3_.kd
    .uniform_work_group_size: 1
    .uses_dynamic_stack: false
    .vgpr_count:     73
    .vgpr_spill_count: 0
    .wavefront_size: 32
    .workgroup_processor_mode: 1
  - .args:
      - .address_space:  global
        .offset:         0
        .size:           8
        .value_kind:     global_buffer
      - .address_space:  global
        .offset:         8
        .size:           8
        .value_kind:     global_buffer
    .group_segment_fixed_size: 0
    .kernarg_segment_align: 8
    .kernarg_segment_size: 16
    .language:       OpenCL C
    .language_version:
      - 2
      - 0
    .max_flat_workgroup_size: 256
    .name:           _Z16warp_load_kernelILj256ELj64ELj64ELN6hipcub17WarpLoadAlgorithmE2EiEvPT3_S3_
    .private_segment_fixed_size: 0
    .sgpr_count:     7
    .sgpr_spill_count: 0
    .symbol:         _Z16warp_load_kernelILj256ELj64ELj64ELN6hipcub17WarpLoadAlgorithmE2EiEvPT3_S3_.kd
    .uniform_work_group_size: 1
    .uses_dynamic_stack: false
    .vgpr_count:     73
    .vgpr_spill_count: 0
    .wavefront_size: 32
    .workgroup_processor_mode: 1
  - .args:
      - .address_space:  global
        .offset:         0
        .size:           8
        .value_kind:     global_buffer
      - .address_space:  global
        .offset:         8
        .size:           8
        .value_kind:     global_buffer
    .group_segment_fixed_size: 0
    .kernarg_segment_align: 8
    .kernarg_segment_size: 16
    .language:       OpenCL C
    .language_version:
      - 2
      - 0
    .max_flat_workgroup_size: 256
    .name:           _Z16warp_load_kernelILj256ELj4ELj64ELN6hipcub17WarpLoadAlgorithmE0EdEvPT3_S3_
    .private_segment_fixed_size: 0
    .sgpr_count:     7
    .sgpr_spill_count: 0
    .symbol:         _Z16warp_load_kernelILj256ELj4ELj64ELN6hipcub17WarpLoadAlgorithmE0EdEvPT3_S3_.kd
    .uniform_work_group_size: 1
    .uses_dynamic_stack: false
    .vgpr_count:     17
    .vgpr_spill_count: 0
    .wavefront_size: 32
    .workgroup_processor_mode: 1
  - .args:
      - .address_space:  global
        .offset:         0
        .size:           8
        .value_kind:     global_buffer
      - .address_space:  global
        .offset:         8
        .size:           8
        .value_kind:     global_buffer
    .group_segment_fixed_size: 0
    .kernarg_segment_align: 8
    .kernarg_segment_size: 16
    .language:       OpenCL C
    .language_version:
      - 2
      - 0
    .max_flat_workgroup_size: 256
    .name:           _Z16warp_load_kernelILj256ELj4ELj64ELN6hipcub17WarpLoadAlgorithmE1EdEvPT3_S3_
    .private_segment_fixed_size: 0
    .sgpr_count:     7
    .sgpr_spill_count: 0
    .symbol:         _Z16warp_load_kernelILj256ELj4ELj64ELN6hipcub17WarpLoadAlgorithmE1EdEvPT3_S3_.kd
    .uniform_work_group_size: 1
    .uses_dynamic_stack: false
    .vgpr_count:     17
    .vgpr_spill_count: 0
    .wavefront_size: 32
    .workgroup_processor_mode: 1
  - .args:
      - .address_space:  global
        .offset:         0
        .size:           8
        .value_kind:     global_buffer
      - .address_space:  global
        .offset:         8
        .size:           8
        .value_kind:     global_buffer
    .group_segment_fixed_size: 0
    .kernarg_segment_align: 8
    .kernarg_segment_size: 16
    .language:       OpenCL C
    .language_version:
      - 2
      - 0
    .max_flat_workgroup_size: 256
    .name:           _Z16warp_load_kernelILj256ELj4ELj64ELN6hipcub17WarpLoadAlgorithmE2EdEvPT3_S3_
    .private_segment_fixed_size: 0
    .sgpr_count:     7
    .sgpr_spill_count: 0
    .symbol:         _Z16warp_load_kernelILj256ELj4ELj64ELN6hipcub17WarpLoadAlgorithmE2EdEvPT3_S3_.kd
    .uniform_work_group_size: 1
    .uses_dynamic_stack: false
    .vgpr_count:     17
    .vgpr_spill_count: 0
    .wavefront_size: 32
    .workgroup_processor_mode: 1
  - .args:
      - .address_space:  global
        .offset:         0
        .size:           8
        .value_kind:     global_buffer
      - .address_space:  global
        .offset:         8
        .size:           8
        .value_kind:     global_buffer
    .group_segment_fixed_size: 8192
    .kernarg_segment_align: 8
    .kernarg_segment_size: 16
    .language:       OpenCL C
    .language_version:
      - 2
      - 0
    .max_flat_workgroup_size: 256
    .name:           _Z16warp_load_kernelILj256ELj4ELj64ELN6hipcub17WarpLoadAlgorithmE3EdEvPT3_S3_
    .private_segment_fixed_size: 0
    .sgpr_count:     7
    .sgpr_spill_count: 0
    .symbol:         _Z16warp_load_kernelILj256ELj4ELj64ELN6hipcub17WarpLoadAlgorithmE3EdEvPT3_S3_.kd
    .uniform_work_group_size: 1
    .uses_dynamic_stack: false
    .vgpr_count:     19
    .vgpr_spill_count: 0
    .wavefront_size: 32
    .workgroup_processor_mode: 1
  - .args:
      - .address_space:  global
        .offset:         0
        .size:           8
        .value_kind:     global_buffer
      - .address_space:  global
        .offset:         8
        .size:           8
        .value_kind:     global_buffer
    .group_segment_fixed_size: 0
    .kernarg_segment_align: 8
    .kernarg_segment_size: 16
    .language:       OpenCL C
    .language_version:
      - 2
      - 0
    .max_flat_workgroup_size: 256
    .name:           _Z16warp_load_kernelILj256ELj8ELj64ELN6hipcub17WarpLoadAlgorithmE0EdEvPT3_S3_
    .private_segment_fixed_size: 0
    .sgpr_count:     7
    .sgpr_spill_count: 0
    .symbol:         _Z16warp_load_kernelILj256ELj8ELj64ELN6hipcub17WarpLoadAlgorithmE0EdEvPT3_S3_.kd
    .uniform_work_group_size: 1
    .uses_dynamic_stack: false
    .vgpr_count:     25
    .vgpr_spill_count: 0
    .wavefront_size: 32
    .workgroup_processor_mode: 1
  - .args:
      - .address_space:  global
        .offset:         0
        .size:           8
        .value_kind:     global_buffer
      - .address_space:  global
        .offset:         8
        .size:           8
        .value_kind:     global_buffer
    .group_segment_fixed_size: 0
    .kernarg_segment_align: 8
    .kernarg_segment_size: 16
    .language:       OpenCL C
    .language_version:
      - 2
      - 0
    .max_flat_workgroup_size: 256
    .name:           _Z16warp_load_kernelILj256ELj8ELj64ELN6hipcub17WarpLoadAlgorithmE1EdEvPT3_S3_
    .private_segment_fixed_size: 0
    .sgpr_count:     7
    .sgpr_spill_count: 0
    .symbol:         _Z16warp_load_kernelILj256ELj8ELj64ELN6hipcub17WarpLoadAlgorithmE1EdEvPT3_S3_.kd
    .uniform_work_group_size: 1
    .uses_dynamic_stack: false
    .vgpr_count:     25
    .vgpr_spill_count: 0
    .wavefront_size: 32
    .workgroup_processor_mode: 1
  - .args:
      - .address_space:  global
        .offset:         0
        .size:           8
        .value_kind:     global_buffer
      - .address_space:  global
        .offset:         8
        .size:           8
        .value_kind:     global_buffer
    .group_segment_fixed_size: 0
    .kernarg_segment_align: 8
    .kernarg_segment_size: 16
    .language:       OpenCL C
    .language_version:
      - 2
      - 0
    .max_flat_workgroup_size: 256
    .name:           _Z16warp_load_kernelILj256ELj8ELj64ELN6hipcub17WarpLoadAlgorithmE2EdEvPT3_S3_
    .private_segment_fixed_size: 0
    .sgpr_count:     7
    .sgpr_spill_count: 0
    .symbol:         _Z16warp_load_kernelILj256ELj8ELj64ELN6hipcub17WarpLoadAlgorithmE2EdEvPT3_S3_.kd
    .uniform_work_group_size: 1
    .uses_dynamic_stack: false
    .vgpr_count:     25
    .vgpr_spill_count: 0
    .wavefront_size: 32
    .workgroup_processor_mode: 1
  - .args:
      - .address_space:  global
        .offset:         0
        .size:           8
        .value_kind:     global_buffer
      - .address_space:  global
        .offset:         8
        .size:           8
        .value_kind:     global_buffer
    .group_segment_fixed_size: 16384
    .kernarg_segment_align: 8
    .kernarg_segment_size: 16
    .language:       OpenCL C
    .language_version:
      - 2
      - 0
    .max_flat_workgroup_size: 256
    .name:           _Z16warp_load_kernelILj256ELj8ELj64ELN6hipcub17WarpLoadAlgorithmE3EdEvPT3_S3_
    .private_segment_fixed_size: 0
    .sgpr_count:     7
    .sgpr_spill_count: 0
    .symbol:         _Z16warp_load_kernelILj256ELj8ELj64ELN6hipcub17WarpLoadAlgorithmE3EdEvPT3_S3_.kd
    .uniform_work_group_size: 1
    .uses_dynamic_stack: false
    .vgpr_count:     29
    .vgpr_spill_count: 0
    .wavefront_size: 32
    .workgroup_processor_mode: 1
  - .args:
      - .address_space:  global
        .offset:         0
        .size:           8
        .value_kind:     global_buffer
      - .address_space:  global
        .offset:         8
        .size:           8
        .value_kind:     global_buffer
    .group_segment_fixed_size: 0
    .kernarg_segment_align: 8
    .kernarg_segment_size: 16
    .language:       OpenCL C
    .language_version:
      - 2
      - 0
    .max_flat_workgroup_size: 256
    .name:           _Z16warp_load_kernelILj256ELj16ELj64ELN6hipcub17WarpLoadAlgorithmE0EdEvPT3_S3_
    .private_segment_fixed_size: 0
    .sgpr_count:     7
    .sgpr_spill_count: 0
    .symbol:         _Z16warp_load_kernelILj256ELj16ELj64ELN6hipcub17WarpLoadAlgorithmE0EdEvPT3_S3_.kd
    .uniform_work_group_size: 1
    .uses_dynamic_stack: false
    .vgpr_count:     41
    .vgpr_spill_count: 0
    .wavefront_size: 32
    .workgroup_processor_mode: 1
  - .args:
      - .address_space:  global
        .offset:         0
        .size:           8
        .value_kind:     global_buffer
      - .address_space:  global
        .offset:         8
        .size:           8
        .value_kind:     global_buffer
    .group_segment_fixed_size: 0
    .kernarg_segment_align: 8
    .kernarg_segment_size: 16
    .language:       OpenCL C
    .language_version:
      - 2
      - 0
    .max_flat_workgroup_size: 256
    .name:           _Z16warp_load_kernelILj256ELj16ELj64ELN6hipcub17WarpLoadAlgorithmE1EdEvPT3_S3_
    .private_segment_fixed_size: 0
    .sgpr_count:     7
    .sgpr_spill_count: 0
    .symbol:         _Z16warp_load_kernelILj256ELj16ELj64ELN6hipcub17WarpLoadAlgorithmE1EdEvPT3_S3_.kd
    .uniform_work_group_size: 1
    .uses_dynamic_stack: false
    .vgpr_count:     41
    .vgpr_spill_count: 0
    .wavefront_size: 32
    .workgroup_processor_mode: 1
  - .args:
      - .address_space:  global
        .offset:         0
        .size:           8
        .value_kind:     global_buffer
      - .address_space:  global
        .offset:         8
        .size:           8
        .value_kind:     global_buffer
    .group_segment_fixed_size: 0
    .kernarg_segment_align: 8
    .kernarg_segment_size: 16
    .language:       OpenCL C
    .language_version:
      - 2
      - 0
    .max_flat_workgroup_size: 256
    .name:           _Z16warp_load_kernelILj256ELj16ELj64ELN6hipcub17WarpLoadAlgorithmE2EdEvPT3_S3_
    .private_segment_fixed_size: 0
    .sgpr_count:     7
    .sgpr_spill_count: 0
    .symbol:         _Z16warp_load_kernelILj256ELj16ELj64ELN6hipcub17WarpLoadAlgorithmE2EdEvPT3_S3_.kd
    .uniform_work_group_size: 1
    .uses_dynamic_stack: false
    .vgpr_count:     41
    .vgpr_spill_count: 0
    .wavefront_size: 32
    .workgroup_processor_mode: 1
  - .args:
      - .address_space:  global
        .offset:         0
        .size:           8
        .value_kind:     global_buffer
      - .address_space:  global
        .offset:         8
        .size:           8
        .value_kind:     global_buffer
    .group_segment_fixed_size: 0
    .kernarg_segment_align: 8
    .kernarg_segment_size: 16
    .language:       OpenCL C
    .language_version:
      - 2
      - 0
    .max_flat_workgroup_size: 256
    .name:           _Z16warp_load_kernelILj256ELj32ELj64ELN6hipcub17WarpLoadAlgorithmE0EdEvPT3_S3_
    .private_segment_fixed_size: 0
    .sgpr_count:     7
    .sgpr_spill_count: 0
    .symbol:         _Z16warp_load_kernelILj256ELj32ELj64ELN6hipcub17WarpLoadAlgorithmE0EdEvPT3_S3_.kd
    .uniform_work_group_size: 1
    .uses_dynamic_stack: false
    .vgpr_count:     73
    .vgpr_spill_count: 0
    .wavefront_size: 32
    .workgroup_processor_mode: 1
  - .args:
      - .address_space:  global
        .offset:         0
        .size:           8
        .value_kind:     global_buffer
      - .address_space:  global
        .offset:         8
        .size:           8
        .value_kind:     global_buffer
    .group_segment_fixed_size: 0
    .kernarg_segment_align: 8
    .kernarg_segment_size: 16
    .language:       OpenCL C
    .language_version:
      - 2
      - 0
    .max_flat_workgroup_size: 256
    .name:           _Z16warp_load_kernelILj256ELj32ELj64ELN6hipcub17WarpLoadAlgorithmE1EdEvPT3_S3_
    .private_segment_fixed_size: 0
    .sgpr_count:     7
    .sgpr_spill_count: 0
    .symbol:         _Z16warp_load_kernelILj256ELj32ELj64ELN6hipcub17WarpLoadAlgorithmE1EdEvPT3_S3_.kd
    .uniform_work_group_size: 1
    .uses_dynamic_stack: false
    .vgpr_count:     73
    .vgpr_spill_count: 0
    .wavefront_size: 32
    .workgroup_processor_mode: 1
  - .args:
      - .address_space:  global
        .offset:         0
        .size:           8
        .value_kind:     global_buffer
      - .address_space:  global
        .offset:         8
        .size:           8
        .value_kind:     global_buffer
    .group_segment_fixed_size: 0
    .kernarg_segment_align: 8
    .kernarg_segment_size: 16
    .language:       OpenCL C
    .language_version:
      - 2
      - 0
    .max_flat_workgroup_size: 256
    .name:           _Z16warp_load_kernelILj256ELj32ELj64ELN6hipcub17WarpLoadAlgorithmE2EdEvPT3_S3_
    .private_segment_fixed_size: 0
    .sgpr_count:     7
    .sgpr_spill_count: 0
    .symbol:         _Z16warp_load_kernelILj256ELj32ELj64ELN6hipcub17WarpLoadAlgorithmE2EdEvPT3_S3_.kd
    .uniform_work_group_size: 1
    .uses_dynamic_stack: false
    .vgpr_count:     73
    .vgpr_spill_count: 0
    .wavefront_size: 32
    .workgroup_processor_mode: 1
  - .args:
      - .address_space:  global
        .offset:         0
        .size:           8
        .value_kind:     global_buffer
      - .address_space:  global
        .offset:         8
        .size:           8
        .value_kind:     global_buffer
    .group_segment_fixed_size: 0
    .kernarg_segment_align: 8
    .kernarg_segment_size: 16
    .language:       OpenCL C
    .language_version:
      - 2
      - 0
    .max_flat_workgroup_size: 256
    .name:           _Z16warp_load_kernelILj256ELj64ELj64ELN6hipcub17WarpLoadAlgorithmE0EdEvPT3_S3_
    .private_segment_fixed_size: 0
    .sgpr_count:     7
    .sgpr_spill_count: 0
    .symbol:         _Z16warp_load_kernelILj256ELj64ELj64ELN6hipcub17WarpLoadAlgorithmE0EdEvPT3_S3_.kd
    .uniform_work_group_size: 1
    .uses_dynamic_stack: false
    .vgpr_count:     137
    .vgpr_spill_count: 0
    .wavefront_size: 32
    .workgroup_processor_mode: 1
  - .args:
      - .address_space:  global
        .offset:         0
        .size:           8
        .value_kind:     global_buffer
      - .address_space:  global
        .offset:         8
        .size:           8
        .value_kind:     global_buffer
    .group_segment_fixed_size: 0
    .kernarg_segment_align: 8
    .kernarg_segment_size: 16
    .language:       OpenCL C
    .language_version:
      - 2
      - 0
    .max_flat_workgroup_size: 256
    .name:           _Z16warp_load_kernelILj256ELj64ELj64ELN6hipcub17WarpLoadAlgorithmE1EdEvPT3_S3_
    .private_segment_fixed_size: 0
    .sgpr_count:     7
    .sgpr_spill_count: 0
    .symbol:         _Z16warp_load_kernelILj256ELj64ELj64ELN6hipcub17WarpLoadAlgorithmE1EdEvPT3_S3_.kd
    .uniform_work_group_size: 1
    .uses_dynamic_stack: false
    .vgpr_count:     137
    .vgpr_spill_count: 0
    .wavefront_size: 32
    .workgroup_processor_mode: 1
  - .args:
      - .address_space:  global
        .offset:         0
        .size:           8
        .value_kind:     global_buffer
      - .address_space:  global
        .offset:         8
        .size:           8
        .value_kind:     global_buffer
    .group_segment_fixed_size: 0
    .kernarg_segment_align: 8
    .kernarg_segment_size: 16
    .language:       OpenCL C
    .language_version:
      - 2
      - 0
    .max_flat_workgroup_size: 256
    .name:           _Z16warp_load_kernelILj256ELj64ELj64ELN6hipcub17WarpLoadAlgorithmE2EdEvPT3_S3_
    .private_segment_fixed_size: 0
    .sgpr_count:     7
    .sgpr_spill_count: 0
    .symbol:         _Z16warp_load_kernelILj256ELj64ELj64ELN6hipcub17WarpLoadAlgorithmE2EdEvPT3_S3_.kd
    .uniform_work_group_size: 1
    .uses_dynamic_stack: false
    .vgpr_count:     137
    .vgpr_spill_count: 0
    .wavefront_size: 32
    .workgroup_processor_mode: 1
amdhsa.target:   amdgcn-amd-amdhsa--gfx1201
amdhsa.version:
  - 1
  - 2
...

	.end_amdgpu_metadata
